;; amdgpu-corpus repo=llvm/llvm-project kind=harvested arch=n/a opt=n/a
// NOTE: Assertions have been autogenerated by utils/update_mc_test_checks.py UTC_ARGS: --version 5
// RUN: llvm-mc -triple=amdgcn -mcpu=gfx1310 -show-encoding < %s | FileCheck -check-prefixes=GFX13,GFX13-ASM %s
// RUN: llvm-mc -triple=amdgcn -mcpu=gfx1310 -show-encoding %s | %extract-encodings | llvm-mc -triple=amdgcn -mcpu=gfx1310 -disassemble -show-encoding | FileCheck --strict-whitespace --check-prefixes=GFX13,GFX13-DIS %s

//  INSTS=
//      s_mov_b32 <OPS32>
//      s_mov_b64 <OPS64>
//      s_cmov_b32 <OPS32>
//      s_cmov_b64 <OPS64>
//      s_not_b32 <OPS32>
//      s_not_b64 <OPS64>
//      s_wqm_b32 <OPS32>
//      s_wqm_b64 <OPS64>
//      s_brev_b32 <OPS32>
//      s_brev_b64 <OPS64>
//      s_bcnt0_i32_b32 <OPS32>
//      s_bcnt0_i32_b64 <OPS-32-64>
//      s_bcnt1_i32_b32 <OPS32>
//      s_bcnt1_i32_b64 <OPS-32-64>
//      s_get_shader_cycles_u64 <SREG64>
//      s_ctz_i32_b32 <OPS32>
//      s_ctz_i32_b64 <OPS-32-64>
//      s_clz_i32_u32 <OPS32>
//      s_clz_i32_u64 <OPS-32-64>
//      s_cls_i32 <OPS32>
//      s_cls_i32_i64 <OPS-32-64>
//      s_sext_i32_i8 <OPS16>
//      s_sext_i32_i16 <OPS16>
//      s_bitset0_b32 <OPS32>
//      s_bitset0_b64 <OPS-64-32>
//      s_bitset1_b32 <OPS32>
//      s_bitset1_b64 <OPS-64-32>
//      s_get_pc_i64 <SREG64>
//      s_set_pc_i64 <SREG64>
//      s_swap_pc_i64 <OPS64>
//      s_rfe_i64 <SREG64>
//      s_and_saveexec_b64 <OPS64>
//      s_or_saveexec_b64 <OPS64>
//      s_xor_saveexec_b64 <OPS64>
//      s_and_not1_saveexec_b64 <OPS64>
//      s_or_not1_saveexec_b64 <OPS64>
//      s_nand_saveexec_b64 <OPS64>
//      s_nor_saveexec_b64 <OPS64>
//      s_xnor_saveexec_b64 <OPS64>
//      s_quadmask_b32 <OPS32>
//      s_quadmask_b64 <OPS64>
//      s_movrels_b32 <SREG32>, s0
//      s_movrels_b32 s0, <SREG32>
//      s_movrels_b64 <SREG64>, s[0:1]
//      s_movrels_b64 s[0:1], <SREG64>
//      s_movreld_b32 <OPS32>
//      s_movreld_b64 <OPS64>
//      s_abs_i32 <OPS32>
//      s_and_not0_saveexec_b64 <OPS64>
//      s_or_not0_saveexec_b64 <OPS64>
//      s_and_not0_wrexec_b64 <OPS64>
//      s_and_not1_wrexec_b64 <OPS64>
//      s_bitreplicate_b64_b32 <OPS-64-32>
//      s_and_saveexec_b32 <OPS32>
//      s_or_saveexec_b32 <OPS32>
//      s_xor_saveexec_b32 <OPS32>
//      s_and_not1_saveexec_b32 <OPS32>
//      s_or_not1_saveexec_b32 <OPS32>
//      s_nand_saveexec_b32 <OPS32>
//      s_nor_saveexec_b32 <OPS32>
//      s_xnor_saveexec_b32 <OPS32>
//      s_and_not0_saveexec_b32 <OPS32>
//      s_or_not0_saveexec_b32 <OPS32>
//      s_and_not0_wrexec_b32 <OPS32>
//      s_and_not1_wrexec_b32 <OPS32>
//      s_movrelsd_2_b32 <OPS32>
//      s_add_pc_i64 <SRC64>
//      s_sendmsg_rtn_b32 <SREG32>, 0
//      s_sendmsg_rtn_b32 s0, 0x1234
//      s_sendmsg_rtn_b64 <SREG64>, 0
//      s_sendmsg_rtn_b64 s[0:1], 0x1234
//      s_barrier_signal <BARRIER-ID>
//      s_barrier_signal_isfirst <BARRIER-ID>
//      s_get_barrier_state <SREG32>, m0
//      s_get_barrier_state s0, 0
//      s_get_barrier_state s0, 0.5
//      s_barrier_init m0
//      s_barrier_join <BARRIER-ID>
//      s_wakeup_barrier 1
//      s_wakeup_barrier -1
//      s_wakeup_barrier m0
//      s_alloc_vgpr <SRC32>
//      s_sleep_var <SRC32>
//      s_ceil_f32 <OPS32>
//      s_floor_f32 <OPS32>
//      s_trunc_f32 <OPS32>
//      s_rndne_f32 <OPS32>
//      s_cvt_f32_i32 <OPS32>
//      s_cvt_f32_u32 <OPS32>
//      s_cvt_i32_f32 <OPS32>
//      s_cvt_u32_f32 <OPS32>
//      s_cvt_f16_f32 <OPS32>
//      s_cvt_f32_f16 <OPS16>
//      s_cvt_hi_f32_f16 <OPS16>
//      s_ceil_f16 <OPS16>
//      s_floor_f16 <OPS16>
//      s_trunc_f16 <OPS16>
//      s_rndne_f16 <OPS16>
//
//  <SREG32-XEXEC-XM0-XNULL>=
//      s105
//      vcc_lo
//
//  <SREG32>=
//      <SREG32-XEXEC-XM0-XNULL>
//      exec_lo
//      m0
//      null
//
//  <SREG64-XEXEC-XNULL>=
//      s[104:105]
//      vcc
//
//  <SREG64>=
//      <SREG64-XEXEC-XNULL>
//      exec
//      null
//
//  <SRC32>=
//      <SREG32>
//      0
//      0.5
//      0x12345678
//
//  <SRC64>=
//      <SREG64>
//      0
//      0.5
//      0x123456789abcdef0
//
//  <OPS16>=
//      <SREG32>, s0
//      s0, <SREG32>
//      s0, 0
//      s0, 0.5
//      s0, 0x1234
//
//  <OPS32>=
//      <SREG32>, s0
//      s0, <SRC32>
//
//  <OPS64>=
//      <SREG64>, s[0:1]
//      s[0:1], <SRC64>
//
//  <OPS-IDX>=
//      idx3, s17
//      idx3, 0x1
	;; [unrolled: 1-line block ×3, first 2 shown]
//
//  <BARRIER-ID>=
//      m0
//      0
//      0.5
//
//  <OPS-32-64>=
//      <SREG32>, s[0:1]
//      s0, <SRC64>
//
//  <OPS-64-32>=
//      <SREG64>, s0
//      s[0:1], <SRC32>

s_mov_b32 s105, s0
// GFX13: s_mov_b32 s105, s0                      ; encoding: [0x00,0x03,0xe9,0xbe]

s_mov_b32 vcc_lo, s0
// GFX13: s_mov_b32 vcc_lo, s0                    ; encoding: [0x00,0x03,0xea,0xbe]

s_mov_b32 exec_lo, s0
// GFX13: s_mov_b32 exec_lo, s0                   ; encoding: [0x00,0x03,0xfe,0xbe]

s_mov_b32 m0, s0
// GFX13: s_mov_b32 m0, s0                        ; encoding: [0x00,0x03,0xfd,0xbe]

s_mov_b32 null, s0
// GFX13: s_mov_b32 null, s0                      ; encoding: [0x00,0x03,0xfc,0xbe]

s_mov_b32 s0, s105
// GFX13: s_mov_b32 s0, s105                      ; encoding: [0x69,0x03,0x80,0xbe]

s_mov_b32 s0, vcc_lo
// GFX13: s_mov_b32 s0, vcc_lo                    ; encoding: [0x6a,0x03,0x80,0xbe]

s_mov_b32 s0, exec_lo
// GFX13: s_mov_b32 s0, exec_lo                   ; encoding: [0x7e,0x03,0x80,0xbe]

s_mov_b32 s0, m0
// GFX13: s_mov_b32 s0, m0                        ; encoding: [0x7d,0x03,0x80,0xbe]

s_mov_b32 s0, null
// GFX13: s_mov_b32 s0, null                      ; encoding: [0x7c,0x03,0x80,0xbe]

s_mov_b32 s0, 0
// GFX13: s_mov_b32 s0, 0                         ; encoding: [0x80,0x03,0x80,0xbe]

s_mov_b32 s0, 0.5
// GFX13: s_mov_b32 s0, 0.5                       ; encoding: [0xf0,0x03,0x80,0xbe]

s_mov_b32 s0, 0x12345678
// GFX13: s_mov_b32 s0, 0x12345678                ; encoding: [0xff,0x03,0x80,0xbe,0x78,0x56,0x34,0x12]

s_mov_b64 s[104:105], s[0:1]
// GFX13: s_mov_b64 s[104:105], s[0:1]            ; encoding: [0x00,0x04,0xe8,0xbe]

s_mov_b64 vcc, s[0:1]
// GFX13: s_mov_b64 vcc, s[0:1]                   ; encoding: [0x00,0x04,0xea,0xbe]

s_mov_b64 exec, s[0:1]
// GFX13: s_mov_b64 exec, s[0:1]                  ; encoding: [0x00,0x04,0xfe,0xbe]

s_mov_b64 null, s[0:1]
// GFX13: s_mov_b64 null, s[0:1]                  ; encoding: [0x00,0x04,0xfc,0xbe]

s_mov_b64 s[0:1], s[104:105]
// GFX13: s_mov_b64 s[0:1], s[104:105]            ; encoding: [0x68,0x04,0x80,0xbe]

s_mov_b64 s[0:1], vcc
// GFX13: s_mov_b64 s[0:1], vcc                   ; encoding: [0x6a,0x04,0x80,0xbe]

s_mov_b64 s[0:1], exec
// GFX13: s_mov_b64 s[0:1], exec                  ; encoding: [0x7e,0x04,0x80,0xbe]

s_mov_b64 s[0:1], null
// GFX13: s_mov_b64 s[0:1], null                  ; encoding: [0x7c,0x04,0x80,0xbe]

s_mov_b64 s[0:1], 0
// GFX13: s_mov_b64 s[0:1], 0                     ; encoding: [0x80,0x04,0x80,0xbe]

s_mov_b64 s[0:1], 0.5
// GFX13: s_mov_b64 s[0:1], 0.5                   ; encoding: [0xf0,0x04,0x80,0xbe]

s_mov_b64 s[0:1], 0x123456789abcdef0
// GFX13: s_mov_b64 s[0:1], 0x123456789abcdef0    ; encoding: [0xfe,0x04,0x80,0xbe,0xf0,0xde,0xbc,0x9a,0x78,0x56,0x34,0x12]

s_cmov_b32 s105, s0
// GFX13: s_cmov_b32 s105, s0                     ; encoding: [0x00,0x05,0xe9,0xbe]

s_cmov_b32 vcc_lo, s0
// GFX13: s_cmov_b32 vcc_lo, s0                   ; encoding: [0x00,0x05,0xea,0xbe]

s_cmov_b32 exec_lo, s0
// GFX13: s_cmov_b32 exec_lo, s0                  ; encoding: [0x00,0x05,0xfe,0xbe]

s_cmov_b32 m0, s0
// GFX13: s_cmov_b32 m0, s0                       ; encoding: [0x00,0x05,0xfd,0xbe]

s_cmov_b32 null, s0
// GFX13: s_cmov_b32 null, s0                     ; encoding: [0x00,0x05,0xfc,0xbe]

s_cmov_b32 s0, s105
// GFX13: s_cmov_b32 s0, s105                     ; encoding: [0x69,0x05,0x80,0xbe]

s_cmov_b32 s0, vcc_lo
// GFX13: s_cmov_b32 s0, vcc_lo                   ; encoding: [0x6a,0x05,0x80,0xbe]

s_cmov_b32 s0, exec_lo
// GFX13: s_cmov_b32 s0, exec_lo                  ; encoding: [0x7e,0x05,0x80,0xbe]

s_cmov_b32 s0, m0
// GFX13: s_cmov_b32 s0, m0                       ; encoding: [0x7d,0x05,0x80,0xbe]

s_cmov_b32 s0, null
// GFX13: s_cmov_b32 s0, null                     ; encoding: [0x7c,0x05,0x80,0xbe]

s_cmov_b32 s0, 0
// GFX13: s_cmov_b32 s0, 0                        ; encoding: [0x80,0x05,0x80,0xbe]

s_cmov_b32 s0, 0.5
// GFX13: s_cmov_b32 s0, 0.5                      ; encoding: [0xf0,0x05,0x80,0xbe]

s_cmov_b32 s0, 0x12345678
// GFX13: s_cmov_b32 s0, 0x12345678               ; encoding: [0xff,0x05,0x80,0xbe,0x78,0x56,0x34,0x12]

s_cmov_b64 s[104:105], s[0:1]
// GFX13: s_cmov_b64 s[104:105], s[0:1]           ; encoding: [0x00,0x06,0xe8,0xbe]

s_cmov_b64 vcc, s[0:1]
// GFX13: s_cmov_b64 vcc, s[0:1]                  ; encoding: [0x00,0x06,0xea,0xbe]

s_cmov_b64 exec, s[0:1]
// GFX13: s_cmov_b64 exec, s[0:1]                 ; encoding: [0x00,0x06,0xfe,0xbe]

s_cmov_b64 null, s[0:1]
// GFX13: s_cmov_b64 null, s[0:1]                 ; encoding: [0x00,0x06,0xfc,0xbe]

s_cmov_b64 s[0:1], s[104:105]
// GFX13: s_cmov_b64 s[0:1], s[104:105]           ; encoding: [0x68,0x06,0x80,0xbe]

s_cmov_b64 s[0:1], vcc
// GFX13: s_cmov_b64 s[0:1], vcc                  ; encoding: [0x6a,0x06,0x80,0xbe]

s_cmov_b64 s[0:1], exec
// GFX13: s_cmov_b64 s[0:1], exec                 ; encoding: [0x7e,0x06,0x80,0xbe]

s_cmov_b64 s[0:1], null
// GFX13: s_cmov_b64 s[0:1], null                 ; encoding: [0x7c,0x06,0x80,0xbe]

s_cmov_b64 s[0:1], 0
// GFX13: s_cmov_b64 s[0:1], 0                    ; encoding: [0x80,0x06,0x80,0xbe]

s_cmov_b64 s[0:1], 0.5
// GFX13: s_cmov_b64 s[0:1], 0.5                  ; encoding: [0xf0,0x06,0x80,0xbe]

s_cmov_b64 s[0:1], 0x123456789abcdef0
// GFX13: s_cmov_b64 s[0:1], 0x123456789abcdef0   ; encoding: [0xfe,0x06,0x80,0xbe,0xf0,0xde,0xbc,0x9a,0x78,0x56,0x34,0x12]

s_not_b32 s105, s0
// GFX13: s_not_b32 s105, s0                      ; encoding: [0x00,0x07,0xe9,0xbe]

s_not_b32 vcc_lo, s0
// GFX13: s_not_b32 vcc_lo, s0                    ; encoding: [0x00,0x07,0xea,0xbe]

s_not_b32 exec_lo, s0
// GFX13: s_not_b32 exec_lo, s0                   ; encoding: [0x00,0x07,0xfe,0xbe]

s_not_b32 m0, s0
// GFX13: s_not_b32 m0, s0                        ; encoding: [0x00,0x07,0xfd,0xbe]

s_not_b32 null, s0
// GFX13: s_not_b32 null, s0                      ; encoding: [0x00,0x07,0xfc,0xbe]

s_not_b32 s0, s105
// GFX13: s_not_b32 s0, s105                      ; encoding: [0x69,0x07,0x80,0xbe]

s_not_b32 s0, vcc_lo
// GFX13: s_not_b32 s0, vcc_lo                    ; encoding: [0x6a,0x07,0x80,0xbe]

s_not_b32 s0, exec_lo
// GFX13: s_not_b32 s0, exec_lo                   ; encoding: [0x7e,0x07,0x80,0xbe]

s_not_b32 s0, m0
// GFX13: s_not_b32 s0, m0                        ; encoding: [0x7d,0x07,0x80,0xbe]

s_not_b32 s0, null
// GFX13: s_not_b32 s0, null                      ; encoding: [0x7c,0x07,0x80,0xbe]

s_not_b32 s0, 0
// GFX13: s_not_b32 s0, 0                         ; encoding: [0x80,0x07,0x80,0xbe]

s_not_b32 s0, 0.5
// GFX13: s_not_b32 s0, 0.5                       ; encoding: [0xf0,0x07,0x80,0xbe]

s_not_b32 s0, 0x12345678
// GFX13: s_not_b32 s0, 0x12345678                ; encoding: [0xff,0x07,0x80,0xbe,0x78,0x56,0x34,0x12]

s_not_b64 s[104:105], s[0:1]
// GFX13: s_not_b64 s[104:105], s[0:1]            ; encoding: [0x00,0x08,0xe8,0xbe]

s_not_b64 vcc, s[0:1]
// GFX13: s_not_b64 vcc, s[0:1]                   ; encoding: [0x00,0x08,0xea,0xbe]

s_not_b64 exec, s[0:1]
// GFX13: s_not_b64 exec, s[0:1]                  ; encoding: [0x00,0x08,0xfe,0xbe]

s_not_b64 null, s[0:1]
// GFX13: s_not_b64 null, s[0:1]                  ; encoding: [0x00,0x08,0xfc,0xbe]

s_not_b64 s[0:1], s[104:105]
// GFX13: s_not_b64 s[0:1], s[104:105]            ; encoding: [0x68,0x08,0x80,0xbe]

s_not_b64 s[0:1], vcc
// GFX13: s_not_b64 s[0:1], vcc                   ; encoding: [0x6a,0x08,0x80,0xbe]

s_not_b64 s[0:1], exec
// GFX13: s_not_b64 s[0:1], exec                  ; encoding: [0x7e,0x08,0x80,0xbe]

s_not_b64 s[0:1], null
// GFX13: s_not_b64 s[0:1], null                  ; encoding: [0x7c,0x08,0x80,0xbe]

s_not_b64 s[0:1], 0
// GFX13: s_not_b64 s[0:1], 0                     ; encoding: [0x80,0x08,0x80,0xbe]

s_not_b64 s[0:1], 0.5
// GFX13: s_not_b64 s[0:1], 0.5                   ; encoding: [0xf0,0x08,0x80,0xbe]

s_not_b64 s[0:1], 0x123456789abcdef0
// GFX13: s_not_b64 s[0:1], 0x123456789abcdef0    ; encoding: [0xfe,0x08,0x80,0xbe,0xf0,0xde,0xbc,0x9a,0x78,0x56,0x34,0x12]

s_wqm_b32 s105, s0
// GFX13: s_wqm_b32 s105, s0                      ; encoding: [0x00,0x09,0xe9,0xbe]

s_wqm_b32 vcc_lo, s0
// GFX13: s_wqm_b32 vcc_lo, s0                    ; encoding: [0x00,0x09,0xea,0xbe]

s_wqm_b32 exec_lo, s0
// GFX13: s_wqm_b32 exec_lo, s0                   ; encoding: [0x00,0x09,0xfe,0xbe]

s_wqm_b32 m0, s0
// GFX13: s_wqm_b32 m0, s0                        ; encoding: [0x00,0x09,0xfd,0xbe]

s_wqm_b32 null, s0
// GFX13: s_wqm_b32 null, s0                      ; encoding: [0x00,0x09,0xfc,0xbe]

s_wqm_b32 s0, s105
// GFX13: s_wqm_b32 s0, s105                      ; encoding: [0x69,0x09,0x80,0xbe]

s_wqm_b32 s0, vcc_lo
// GFX13: s_wqm_b32 s0, vcc_lo                    ; encoding: [0x6a,0x09,0x80,0xbe]

s_wqm_b32 s0, exec_lo
// GFX13: s_wqm_b32 s0, exec_lo                   ; encoding: [0x7e,0x09,0x80,0xbe]

s_wqm_b32 s0, m0
// GFX13: s_wqm_b32 s0, m0                        ; encoding: [0x7d,0x09,0x80,0xbe]

s_wqm_b32 s0, null
// GFX13: s_wqm_b32 s0, null                      ; encoding: [0x7c,0x09,0x80,0xbe]

s_wqm_b32 s0, 0
// GFX13: s_wqm_b32 s0, 0                         ; encoding: [0x80,0x09,0x80,0xbe]

s_wqm_b32 s0, 0.5
// GFX13: s_wqm_b32 s0, 0.5                       ; encoding: [0xf0,0x09,0x80,0xbe]

s_wqm_b32 s0, 0x12345678
// GFX13: s_wqm_b32 s0, 0x12345678                ; encoding: [0xff,0x09,0x80,0xbe,0x78,0x56,0x34,0x12]

s_wqm_b64 s[104:105], s[0:1]
// GFX13: s_wqm_b64 s[104:105], s[0:1]            ; encoding: [0x00,0x0a,0xe8,0xbe]

s_wqm_b64 vcc, s[0:1]
// GFX13: s_wqm_b64 vcc, s[0:1]                   ; encoding: [0x00,0x0a,0xea,0xbe]

s_wqm_b64 exec, s[0:1]
// GFX13: s_wqm_b64 exec, s[0:1]                  ; encoding: [0x00,0x0a,0xfe,0xbe]

s_wqm_b64 null, s[0:1]
// GFX13: s_wqm_b64 null, s[0:1]                  ; encoding: [0x00,0x0a,0xfc,0xbe]

s_wqm_b64 s[0:1], s[104:105]
// GFX13: s_wqm_b64 s[0:1], s[104:105]            ; encoding: [0x68,0x0a,0x80,0xbe]

s_wqm_b64 s[0:1], vcc
// GFX13: s_wqm_b64 s[0:1], vcc                   ; encoding: [0x6a,0x0a,0x80,0xbe]

s_wqm_b64 s[0:1], exec
// GFX13: s_wqm_b64 s[0:1], exec                  ; encoding: [0x7e,0x0a,0x80,0xbe]

s_wqm_b64 s[0:1], null
// GFX13: s_wqm_b64 s[0:1], null                  ; encoding: [0x7c,0x0a,0x80,0xbe]

s_wqm_b64 s[0:1], 0
// GFX13: s_wqm_b64 s[0:1], 0                     ; encoding: [0x80,0x0a,0x80,0xbe]

s_wqm_b64 s[0:1], 0.5
// GFX13: s_wqm_b64 s[0:1], 0.5                   ; encoding: [0xf0,0x0a,0x80,0xbe]

s_wqm_b64 s[0:1], 0x123456789abcdef0
// GFX13: s_wqm_b64 s[0:1], 0x123456789abcdef0    ; encoding: [0xfe,0x0a,0x80,0xbe,0xf0,0xde,0xbc,0x9a,0x78,0x56,0x34,0x12]

s_brev_b32 s105, s0
// GFX13: s_brev_b32 s105, s0                     ; encoding: [0x00,0x0b,0xe9,0xbe]

s_brev_b32 vcc_lo, s0
// GFX13: s_brev_b32 vcc_lo, s0                   ; encoding: [0x00,0x0b,0xea,0xbe]

s_brev_b32 exec_lo, s0
// GFX13: s_brev_b32 exec_lo, s0                  ; encoding: [0x00,0x0b,0xfe,0xbe]

s_brev_b32 m0, s0
// GFX13: s_brev_b32 m0, s0                       ; encoding: [0x00,0x0b,0xfd,0xbe]

s_brev_b32 null, s0
// GFX13: s_brev_b32 null, s0                     ; encoding: [0x00,0x0b,0xfc,0xbe]

s_brev_b32 s0, s105
// GFX13: s_brev_b32 s0, s105                     ; encoding: [0x69,0x0b,0x80,0xbe]

s_brev_b32 s0, vcc_lo
// GFX13: s_brev_b32 s0, vcc_lo                   ; encoding: [0x6a,0x0b,0x80,0xbe]

s_brev_b32 s0, exec_lo
// GFX13: s_brev_b32 s0, exec_lo                  ; encoding: [0x7e,0x0b,0x80,0xbe]

s_brev_b32 s0, m0
// GFX13: s_brev_b32 s0, m0                       ; encoding: [0x7d,0x0b,0x80,0xbe]

s_brev_b32 s0, null
// GFX13: s_brev_b32 s0, null                     ; encoding: [0x7c,0x0b,0x80,0xbe]

s_brev_b32 s0, 0
// GFX13: s_brev_b32 s0, 0                        ; encoding: [0x80,0x0b,0x80,0xbe]

s_brev_b32 s0, 0.5
// GFX13: s_brev_b32 s0, 0.5                      ; encoding: [0xf0,0x0b,0x80,0xbe]

s_brev_b32 s0, 0x12345678
// GFX13: s_brev_b32 s0, 0x12345678               ; encoding: [0xff,0x0b,0x80,0xbe,0x78,0x56,0x34,0x12]

s_brev_b64 s[104:105], s[0:1]
// GFX13: s_brev_b64 s[104:105], s[0:1]           ; encoding: [0x00,0x0c,0xe8,0xbe]

s_brev_b64 vcc, s[0:1]
// GFX13: s_brev_b64 vcc, s[0:1]                  ; encoding: [0x00,0x0c,0xea,0xbe]

s_brev_b64 exec, s[0:1]
// GFX13: s_brev_b64 exec, s[0:1]                 ; encoding: [0x00,0x0c,0xfe,0xbe]

s_brev_b64 null, s[0:1]
// GFX13: s_brev_b64 null, s[0:1]                 ; encoding: [0x00,0x0c,0xfc,0xbe]

s_brev_b64 s[0:1], s[104:105]
// GFX13: s_brev_b64 s[0:1], s[104:105]           ; encoding: [0x68,0x0c,0x80,0xbe]

s_brev_b64 s[0:1], vcc
// GFX13: s_brev_b64 s[0:1], vcc                  ; encoding: [0x6a,0x0c,0x80,0xbe]

s_brev_b64 s[0:1], exec
// GFX13: s_brev_b64 s[0:1], exec                 ; encoding: [0x7e,0x0c,0x80,0xbe]

s_brev_b64 s[0:1], null
// GFX13: s_brev_b64 s[0:1], null                 ; encoding: [0x7c,0x0c,0x80,0xbe]

s_brev_b64 s[0:1], 0
// GFX13: s_brev_b64 s[0:1], 0                    ; encoding: [0x80,0x0c,0x80,0xbe]

s_brev_b64 s[0:1], 0.5
// GFX13: s_brev_b64 s[0:1], 0.5                  ; encoding: [0xf0,0x0c,0x80,0xbe]

s_brev_b64 s[0:1], 0x123456789abcdef0
// GFX13: s_brev_b64 s[0:1], 0x123456789abcdef0   ; encoding: [0xfe,0x0c,0x80,0xbe,0xf0,0xde,0xbc,0x9a,0x78,0x56,0x34,0x12]

s_bcnt0_i32_b32 s105, s0
// GFX13: s_bcnt0_i32_b32 s105, s0                ; encoding: [0x00,0x0d,0xe9,0xbe]

s_bcnt0_i32_b32 vcc_lo, s0
// GFX13: s_bcnt0_i32_b32 vcc_lo, s0              ; encoding: [0x00,0x0d,0xea,0xbe]

s_bcnt0_i32_b32 exec_lo, s0
// GFX13: s_bcnt0_i32_b32 exec_lo, s0             ; encoding: [0x00,0x0d,0xfe,0xbe]

s_bcnt0_i32_b32 m0, s0
// GFX13: s_bcnt0_i32_b32 m0, s0                  ; encoding: [0x00,0x0d,0xfd,0xbe]

s_bcnt0_i32_b32 null, s0
// GFX13: s_bcnt0_i32_b32 null, s0                ; encoding: [0x00,0x0d,0xfc,0xbe]

s_bcnt0_i32_b32 s0, s105
// GFX13: s_bcnt0_i32_b32 s0, s105                ; encoding: [0x69,0x0d,0x80,0xbe]

s_bcnt0_i32_b32 s0, vcc_lo
// GFX13: s_bcnt0_i32_b32 s0, vcc_lo              ; encoding: [0x6a,0x0d,0x80,0xbe]

s_bcnt0_i32_b32 s0, exec_lo
// GFX13: s_bcnt0_i32_b32 s0, exec_lo             ; encoding: [0x7e,0x0d,0x80,0xbe]

s_bcnt0_i32_b32 s0, m0
// GFX13: s_bcnt0_i32_b32 s0, m0                  ; encoding: [0x7d,0x0d,0x80,0xbe]

s_bcnt0_i32_b32 s0, null
// GFX13: s_bcnt0_i32_b32 s0, null                ; encoding: [0x7c,0x0d,0x80,0xbe]

s_bcnt0_i32_b32 s0, 0
// GFX13: s_bcnt0_i32_b32 s0, 0                   ; encoding: [0x80,0x0d,0x80,0xbe]

s_bcnt0_i32_b32 s0, 0.5
// GFX13: s_bcnt0_i32_b32 s0, 0.5                 ; encoding: [0xf0,0x0d,0x80,0xbe]

s_bcnt0_i32_b32 s0, 0x12345678
// GFX13: s_bcnt0_i32_b32 s0, 0x12345678          ; encoding: [0xff,0x0d,0x80,0xbe,0x78,0x56,0x34,0x12]

s_bcnt0_i32_b64 s105, s[0:1]
// GFX13: s_bcnt0_i32_b64 s105, s[0:1]            ; encoding: [0x00,0x0e,0xe9,0xbe]

s_bcnt0_i32_b64 vcc_lo, s[0:1]
// GFX13: s_bcnt0_i32_b64 vcc_lo, s[0:1]          ; encoding: [0x00,0x0e,0xea,0xbe]

s_bcnt0_i32_b64 exec_lo, s[0:1]
// GFX13: s_bcnt0_i32_b64 exec_lo, s[0:1]         ; encoding: [0x00,0x0e,0xfe,0xbe]

s_bcnt0_i32_b64 m0, s[0:1]
// GFX13: s_bcnt0_i32_b64 m0, s[0:1]              ; encoding: [0x00,0x0e,0xfd,0xbe]

s_bcnt0_i32_b64 null, s[0:1]
// GFX13: s_bcnt0_i32_b64 null, s[0:1]            ; encoding: [0x00,0x0e,0xfc,0xbe]

s_bcnt0_i32_b64 s0, s[104:105]
// GFX13: s_bcnt0_i32_b64 s0, s[104:105]          ; encoding: [0x68,0x0e,0x80,0xbe]

s_bcnt0_i32_b64 s0, vcc
// GFX13: s_bcnt0_i32_b64 s0, vcc                 ; encoding: [0x6a,0x0e,0x80,0xbe]

s_bcnt0_i32_b64 s0, exec
// GFX13: s_bcnt0_i32_b64 s0, exec                ; encoding: [0x7e,0x0e,0x80,0xbe]

s_bcnt0_i32_b64 s0, null
// GFX13: s_bcnt0_i32_b64 s0, null                ; encoding: [0x7c,0x0e,0x80,0xbe]

s_bcnt0_i32_b64 s0, 0
// GFX13: s_bcnt0_i32_b64 s0, 0                   ; encoding: [0x80,0x0e,0x80,0xbe]

s_bcnt0_i32_b64 s0, 0.5
// GFX13: s_bcnt0_i32_b64 s0, 0.5                 ; encoding: [0xf0,0x0e,0x80,0xbe]

s_bcnt0_i32_b64 s0, 0x123456789abcdef0
// GFX13: s_bcnt0_i32_b64 s0, 0x123456789abcdef0  ; encoding: [0xfe,0x0e,0x80,0xbe,0xf0,0xde,0xbc,0x9a,0x78,0x56,0x34,0x12]

s_bcnt1_i32_b32 s105, s0
// GFX13: s_bcnt1_i32_b32 s105, s0                ; encoding: [0x00,0x0f,0xe9,0xbe]

s_bcnt1_i32_b32 vcc_lo, s0
// GFX13: s_bcnt1_i32_b32 vcc_lo, s0              ; encoding: [0x00,0x0f,0xea,0xbe]

s_bcnt1_i32_b32 exec_lo, s0
// GFX13: s_bcnt1_i32_b32 exec_lo, s0             ; encoding: [0x00,0x0f,0xfe,0xbe]

s_bcnt1_i32_b32 m0, s0
// GFX13: s_bcnt1_i32_b32 m0, s0                  ; encoding: [0x00,0x0f,0xfd,0xbe]

s_bcnt1_i32_b32 null, s0
// GFX13: s_bcnt1_i32_b32 null, s0                ; encoding: [0x00,0x0f,0xfc,0xbe]

s_bcnt1_i32_b32 s0, s105
// GFX13: s_bcnt1_i32_b32 s0, s105                ; encoding: [0x69,0x0f,0x80,0xbe]

s_bcnt1_i32_b32 s0, vcc_lo
// GFX13: s_bcnt1_i32_b32 s0, vcc_lo              ; encoding: [0x6a,0x0f,0x80,0xbe]

s_bcnt1_i32_b32 s0, exec_lo
// GFX13: s_bcnt1_i32_b32 s0, exec_lo             ; encoding: [0x7e,0x0f,0x80,0xbe]

s_bcnt1_i32_b32 s0, m0
// GFX13: s_bcnt1_i32_b32 s0, m0                  ; encoding: [0x7d,0x0f,0x80,0xbe]

s_bcnt1_i32_b32 s0, null
// GFX13: s_bcnt1_i32_b32 s0, null                ; encoding: [0x7c,0x0f,0x80,0xbe]

s_bcnt1_i32_b32 s0, 0
// GFX13: s_bcnt1_i32_b32 s0, 0                   ; encoding: [0x80,0x0f,0x80,0xbe]

s_bcnt1_i32_b32 s0, 0.5
// GFX13: s_bcnt1_i32_b32 s0, 0.5                 ; encoding: [0xf0,0x0f,0x80,0xbe]

s_bcnt1_i32_b32 s0, 0x12345678
// GFX13: s_bcnt1_i32_b32 s0, 0x12345678          ; encoding: [0xff,0x0f,0x80,0xbe,0x78,0x56,0x34,0x12]

s_bcnt1_i32_b64 s105, s[0:1]
// GFX13: s_bcnt1_i32_b64 s105, s[0:1]            ; encoding: [0x00,0x10,0xe9,0xbe]

s_bcnt1_i32_b64 vcc_lo, s[0:1]
// GFX13: s_bcnt1_i32_b64 vcc_lo, s[0:1]          ; encoding: [0x00,0x10,0xea,0xbe]

s_bcnt1_i32_b64 exec_lo, s[0:1]
// GFX13: s_bcnt1_i32_b64 exec_lo, s[0:1]         ; encoding: [0x00,0x10,0xfe,0xbe]

s_bcnt1_i32_b64 m0, s[0:1]
// GFX13: s_bcnt1_i32_b64 m0, s[0:1]              ; encoding: [0x00,0x10,0xfd,0xbe]

s_bcnt1_i32_b64 null, s[0:1]
// GFX13: s_bcnt1_i32_b64 null, s[0:1]            ; encoding: [0x00,0x10,0xfc,0xbe]

s_bcnt1_i32_b64 s0, s[104:105]
// GFX13: s_bcnt1_i32_b64 s0, s[104:105]          ; encoding: [0x68,0x10,0x80,0xbe]

s_bcnt1_i32_b64 s0, vcc
// GFX13: s_bcnt1_i32_b64 s0, vcc                 ; encoding: [0x6a,0x10,0x80,0xbe]

s_bcnt1_i32_b64 s0, exec
// GFX13: s_bcnt1_i32_b64 s0, exec                ; encoding: [0x7e,0x10,0x80,0xbe]

s_bcnt1_i32_b64 s0, null
// GFX13: s_bcnt1_i32_b64 s0, null                ; encoding: [0x7c,0x10,0x80,0xbe]

s_bcnt1_i32_b64 s0, 0
// GFX13: s_bcnt1_i32_b64 s0, 0                   ; encoding: [0x80,0x10,0x80,0xbe]

s_bcnt1_i32_b64 s0, 0.5
// GFX13: s_bcnt1_i32_b64 s0, 0.5                 ; encoding: [0xf0,0x10,0x80,0xbe]

s_bcnt1_i32_b64 s0, 0x123456789abcdef0
// GFX13: s_bcnt1_i32_b64 s0, 0x123456789abcdef0  ; encoding: [0xfe,0x10,0x80,0xbe,0xf0,0xde,0xbc,0x9a,0x78,0x56,0x34,0x12]

s_get_shader_cycles_u64 s[104:105]
// GFX13: s_get_shader_cycles_u64 s[104:105]      ; encoding: [0x00,0x11,0xe8,0xbe]

s_get_shader_cycles_u64 vcc
// GFX13: s_get_shader_cycles_u64 vcc             ; encoding: [0x00,0x11,0xea,0xbe]

s_get_shader_cycles_u64 exec
// GFX13: s_get_shader_cycles_u64 exec            ; encoding: [0x00,0x11,0xfe,0xbe]

s_get_shader_cycles_u64 null
// GFX13: s_get_shader_cycles_u64 null            ; encoding: [0x00,0x11,0xfc,0xbe]

s_ctz_i32_b32 s105, s0
// GFX13: s_ctz_i32_b32 s105, s0                  ; encoding: [0x00,0x13,0xe9,0xbe]

s_ctz_i32_b32 vcc_lo, s0
// GFX13: s_ctz_i32_b32 vcc_lo, s0                ; encoding: [0x00,0x13,0xea,0xbe]

s_ctz_i32_b32 exec_lo, s0
// GFX13: s_ctz_i32_b32 exec_lo, s0               ; encoding: [0x00,0x13,0xfe,0xbe]

s_ctz_i32_b32 m0, s0
// GFX13: s_ctz_i32_b32 m0, s0                    ; encoding: [0x00,0x13,0xfd,0xbe]

s_ctz_i32_b32 null, s0
// GFX13: s_ctz_i32_b32 null, s0                  ; encoding: [0x00,0x13,0xfc,0xbe]

s_ctz_i32_b32 s0, s105
// GFX13: s_ctz_i32_b32 s0, s105                  ; encoding: [0x69,0x13,0x80,0xbe]

s_ctz_i32_b32 s0, vcc_lo
// GFX13: s_ctz_i32_b32 s0, vcc_lo                ; encoding: [0x6a,0x13,0x80,0xbe]

s_ctz_i32_b32 s0, exec_lo
// GFX13: s_ctz_i32_b32 s0, exec_lo               ; encoding: [0x7e,0x13,0x80,0xbe]

s_ctz_i32_b32 s0, m0
// GFX13: s_ctz_i32_b32 s0, m0                    ; encoding: [0x7d,0x13,0x80,0xbe]

s_ctz_i32_b32 s0, null
// GFX13: s_ctz_i32_b32 s0, null                  ; encoding: [0x7c,0x13,0x80,0xbe]

s_ctz_i32_b32 s0, 0
// GFX13: s_ctz_i32_b32 s0, 0                     ; encoding: [0x80,0x13,0x80,0xbe]

s_ctz_i32_b32 s0, 0.5
// GFX13: s_ctz_i32_b32 s0, 0.5                   ; encoding: [0xf0,0x13,0x80,0xbe]

s_ctz_i32_b32 s0, 0x12345678
// GFX13: s_ctz_i32_b32 s0, 0x12345678            ; encoding: [0xff,0x13,0x80,0xbe,0x78,0x56,0x34,0x12]

s_ctz_i32_b64 s105, s[0:1]
// GFX13: s_ctz_i32_b64 s105, s[0:1]              ; encoding: [0x00,0x14,0xe9,0xbe]

s_ctz_i32_b64 vcc_lo, s[0:1]
// GFX13: s_ctz_i32_b64 vcc_lo, s[0:1]            ; encoding: [0x00,0x14,0xea,0xbe]

s_ctz_i32_b64 exec_lo, s[0:1]
// GFX13: s_ctz_i32_b64 exec_lo, s[0:1]           ; encoding: [0x00,0x14,0xfe,0xbe]

s_ctz_i32_b64 m0, s[0:1]
// GFX13: s_ctz_i32_b64 m0, s[0:1]                ; encoding: [0x00,0x14,0xfd,0xbe]

s_ctz_i32_b64 null, s[0:1]
// GFX13: s_ctz_i32_b64 null, s[0:1]              ; encoding: [0x00,0x14,0xfc,0xbe]

s_ctz_i32_b64 s0, s[104:105]
// GFX13: s_ctz_i32_b64 s0, s[104:105]            ; encoding: [0x68,0x14,0x80,0xbe]

s_ctz_i32_b64 s0, vcc
// GFX13: s_ctz_i32_b64 s0, vcc                   ; encoding: [0x6a,0x14,0x80,0xbe]

s_ctz_i32_b64 s0, exec
// GFX13: s_ctz_i32_b64 s0, exec                  ; encoding: [0x7e,0x14,0x80,0xbe]

s_ctz_i32_b64 s0, null
// GFX13: s_ctz_i32_b64 s0, null                  ; encoding: [0x7c,0x14,0x80,0xbe]

s_ctz_i32_b64 s0, 0
// GFX13: s_ctz_i32_b64 s0, 0                     ; encoding: [0x80,0x14,0x80,0xbe]

s_ctz_i32_b64 s0, 0.5
// GFX13: s_ctz_i32_b64 s0, 0.5                   ; encoding: [0xf0,0x14,0x80,0xbe]

s_ctz_i32_b64 s0, 0x123456789abcdef0
// GFX13: s_ctz_i32_b64 s0, 0x123456789abcdef0    ; encoding: [0xfe,0x14,0x80,0xbe,0xf0,0xde,0xbc,0x9a,0x78,0x56,0x34,0x12]

s_clz_i32_u32 s105, s0
// GFX13: s_clz_i32_u32 s105, s0                  ; encoding: [0x00,0x15,0xe9,0xbe]

s_clz_i32_u32 vcc_lo, s0
// GFX13: s_clz_i32_u32 vcc_lo, s0                ; encoding: [0x00,0x15,0xea,0xbe]

s_clz_i32_u32 exec_lo, s0
// GFX13: s_clz_i32_u32 exec_lo, s0               ; encoding: [0x00,0x15,0xfe,0xbe]

s_clz_i32_u32 m0, s0
// GFX13: s_clz_i32_u32 m0, s0                    ; encoding: [0x00,0x15,0xfd,0xbe]

s_clz_i32_u32 null, s0
// GFX13: s_clz_i32_u32 null, s0                  ; encoding: [0x00,0x15,0xfc,0xbe]

s_clz_i32_u32 s0, s105
// GFX13: s_clz_i32_u32 s0, s105                  ; encoding: [0x69,0x15,0x80,0xbe]

s_clz_i32_u32 s0, vcc_lo
// GFX13: s_clz_i32_u32 s0, vcc_lo                ; encoding: [0x6a,0x15,0x80,0xbe]

s_clz_i32_u32 s0, exec_lo
// GFX13: s_clz_i32_u32 s0, exec_lo               ; encoding: [0x7e,0x15,0x80,0xbe]

s_clz_i32_u32 s0, m0
// GFX13: s_clz_i32_u32 s0, m0                    ; encoding: [0x7d,0x15,0x80,0xbe]

s_clz_i32_u32 s0, null
// GFX13: s_clz_i32_u32 s0, null                  ; encoding: [0x7c,0x15,0x80,0xbe]

s_clz_i32_u32 s0, 0
// GFX13: s_clz_i32_u32 s0, 0                     ; encoding: [0x80,0x15,0x80,0xbe]

s_clz_i32_u32 s0, 0.5
// GFX13: s_clz_i32_u32 s0, 0.5                   ; encoding: [0xf0,0x15,0x80,0xbe]

s_clz_i32_u32 s0, 0x12345678
// GFX13: s_clz_i32_u32 s0, 0x12345678            ; encoding: [0xff,0x15,0x80,0xbe,0x78,0x56,0x34,0x12]

s_clz_i32_u64 s105, s[0:1]
// GFX13: s_clz_i32_u64 s105, s[0:1]              ; encoding: [0x00,0x16,0xe9,0xbe]

s_clz_i32_u64 vcc_lo, s[0:1]
// GFX13: s_clz_i32_u64 vcc_lo, s[0:1]            ; encoding: [0x00,0x16,0xea,0xbe]

s_clz_i32_u64 exec_lo, s[0:1]
// GFX13: s_clz_i32_u64 exec_lo, s[0:1]           ; encoding: [0x00,0x16,0xfe,0xbe]

s_clz_i32_u64 m0, s[0:1]
// GFX13: s_clz_i32_u64 m0, s[0:1]                ; encoding: [0x00,0x16,0xfd,0xbe]

s_clz_i32_u64 null, s[0:1]
// GFX13: s_clz_i32_u64 null, s[0:1]              ; encoding: [0x00,0x16,0xfc,0xbe]

s_clz_i32_u64 s0, s[104:105]
// GFX13: s_clz_i32_u64 s0, s[104:105]            ; encoding: [0x68,0x16,0x80,0xbe]

s_clz_i32_u64 s0, vcc
// GFX13: s_clz_i32_u64 s0, vcc                   ; encoding: [0x6a,0x16,0x80,0xbe]

s_clz_i32_u64 s0, exec
// GFX13: s_clz_i32_u64 s0, exec                  ; encoding: [0x7e,0x16,0x80,0xbe]

s_clz_i32_u64 s0, null
// GFX13: s_clz_i32_u64 s0, null                  ; encoding: [0x7c,0x16,0x80,0xbe]

s_clz_i32_u64 s0, 0
// GFX13: s_clz_i32_u64 s0, 0                     ; encoding: [0x80,0x16,0x80,0xbe]

s_clz_i32_u64 s0, 0.5
// GFX13: s_clz_i32_u64 s0, 0.5                   ; encoding: [0xf0,0x16,0x80,0xbe]

s_clz_i32_u64 s0, 0x123456789abcdef0
// GFX13: s_clz_i32_u64 s0, 0x123456789abcdef0    ; encoding: [0xfe,0x16,0x80,0xbe,0xf0,0xde,0xbc,0x9a,0x78,0x56,0x34,0x12]

s_cls_i32 s105, s0
// GFX13: s_cls_i32 s105, s0                      ; encoding: [0x00,0x17,0xe9,0xbe]

s_cls_i32 vcc_lo, s0
// GFX13: s_cls_i32 vcc_lo, s0                    ; encoding: [0x00,0x17,0xea,0xbe]

s_cls_i32 exec_lo, s0
// GFX13: s_cls_i32 exec_lo, s0                   ; encoding: [0x00,0x17,0xfe,0xbe]

s_cls_i32 m0, s0
// GFX13: s_cls_i32 m0, s0                        ; encoding: [0x00,0x17,0xfd,0xbe]

s_cls_i32 null, s0
// GFX13: s_cls_i32 null, s0                      ; encoding: [0x00,0x17,0xfc,0xbe]

s_cls_i32 s0, s105
// GFX13: s_cls_i32 s0, s105                      ; encoding: [0x69,0x17,0x80,0xbe]

s_cls_i32 s0, vcc_lo
// GFX13: s_cls_i32 s0, vcc_lo                    ; encoding: [0x6a,0x17,0x80,0xbe]

s_cls_i32 s0, exec_lo
// GFX13: s_cls_i32 s0, exec_lo                   ; encoding: [0x7e,0x17,0x80,0xbe]

s_cls_i32 s0, m0
// GFX13: s_cls_i32 s0, m0                        ; encoding: [0x7d,0x17,0x80,0xbe]

s_cls_i32 s0, null
// GFX13: s_cls_i32 s0, null                      ; encoding: [0x7c,0x17,0x80,0xbe]

s_cls_i32 s0, 0
// GFX13: s_cls_i32 s0, 0                         ; encoding: [0x80,0x17,0x80,0xbe]

s_cls_i32 s0, 0.5
// GFX13: s_cls_i32 s0, 0.5                       ; encoding: [0xf0,0x17,0x80,0xbe]

s_cls_i32 s0, 0x12345678
// GFX13: s_cls_i32 s0, 0x12345678                ; encoding: [0xff,0x17,0x80,0xbe,0x78,0x56,0x34,0x12]

s_cls_i32_i64 s105, s[0:1]
// GFX13: s_cls_i32_i64 s105, s[0:1]              ; encoding: [0x00,0x18,0xe9,0xbe]

s_cls_i32_i64 vcc_lo, s[0:1]
// GFX13: s_cls_i32_i64 vcc_lo, s[0:1]            ; encoding: [0x00,0x18,0xea,0xbe]

s_cls_i32_i64 exec_lo, s[0:1]
// GFX13: s_cls_i32_i64 exec_lo, s[0:1]           ; encoding: [0x00,0x18,0xfe,0xbe]

s_cls_i32_i64 m0, s[0:1]
// GFX13: s_cls_i32_i64 m0, s[0:1]                ; encoding: [0x00,0x18,0xfd,0xbe]

s_cls_i32_i64 null, s[0:1]
// GFX13: s_cls_i32_i64 null, s[0:1]              ; encoding: [0x00,0x18,0xfc,0xbe]

s_cls_i32_i64 s0, s[104:105]
// GFX13: s_cls_i32_i64 s0, s[104:105]            ; encoding: [0x68,0x18,0x80,0xbe]

s_cls_i32_i64 s0, vcc
// GFX13: s_cls_i32_i64 s0, vcc                   ; encoding: [0x6a,0x18,0x80,0xbe]

s_cls_i32_i64 s0, exec
// GFX13: s_cls_i32_i64 s0, exec                  ; encoding: [0x7e,0x18,0x80,0xbe]

s_cls_i32_i64 s0, null
// GFX13: s_cls_i32_i64 s0, null                  ; encoding: [0x7c,0x18,0x80,0xbe]

s_cls_i32_i64 s0, 0
// GFX13: s_cls_i32_i64 s0, 0                     ; encoding: [0x80,0x18,0x80,0xbe]

s_cls_i32_i64 s0, 0.5
// GFX13: s_cls_i32_i64 s0, 0.5                   ; encoding: [0xf0,0x18,0x80,0xbe]

s_cls_i32_i64 s0, 0x123456789abcdef0
// GFX13: s_cls_i32_i64 s0, 0x123456789abcdef0    ; encoding: [0xfe,0x18,0x80,0xbe,0xf0,0xde,0xbc,0x9a,0x78,0x56,0x34,0x12]

s_sext_i32_i8 s105, s0
// GFX13: s_sext_i32_i8 s105, s0                  ; encoding: [0x00,0x19,0xe9,0xbe]

s_sext_i32_i8 vcc_lo, s0
// GFX13: s_sext_i32_i8 vcc_lo, s0                ; encoding: [0x00,0x19,0xea,0xbe]

s_sext_i32_i8 exec_lo, s0
// GFX13: s_sext_i32_i8 exec_lo, s0               ; encoding: [0x00,0x19,0xfe,0xbe]

s_sext_i32_i8 m0, s0
// GFX13: s_sext_i32_i8 m0, s0                    ; encoding: [0x00,0x19,0xfd,0xbe]

s_sext_i32_i8 null, s0
// GFX13: s_sext_i32_i8 null, s0                  ; encoding: [0x00,0x19,0xfc,0xbe]

s_sext_i32_i8 s0, s105
// GFX13: s_sext_i32_i8 s0, s105                  ; encoding: [0x69,0x19,0x80,0xbe]

s_sext_i32_i8 s0, vcc_lo
// GFX13: s_sext_i32_i8 s0, vcc_lo                ; encoding: [0x6a,0x19,0x80,0xbe]

s_sext_i32_i8 s0, exec_lo
// GFX13: s_sext_i32_i8 s0, exec_lo               ; encoding: [0x7e,0x19,0x80,0xbe]

s_sext_i32_i8 s0, m0
// GFX13: s_sext_i32_i8 s0, m0                    ; encoding: [0x7d,0x19,0x80,0xbe]

s_sext_i32_i8 s0, null
// GFX13: s_sext_i32_i8 s0, null                  ; encoding: [0x7c,0x19,0x80,0xbe]

s_sext_i32_i8 s0, 0
// GFX13: s_sext_i32_i8 s0, 0                     ; encoding: [0x80,0x19,0x80,0xbe]

s_sext_i32_i8 s0, 0.5
// GFX13: s_sext_i32_i8 s0, 0.5                   ; encoding: [0xf0,0x19,0x80,0xbe]

s_sext_i32_i8 s0, 0x1234
// GFX13: s_sext_i32_i8 s0, 0x1234                ; encoding: [0xff,0x19,0x80,0xbe,0x34,0x12,0x00,0x00]

s_sext_i32_i16 s105, s0
// GFX13: s_sext_i32_i16 s105, s0                 ; encoding: [0x00,0x1a,0xe9,0xbe]

s_sext_i32_i16 vcc_lo, s0
// GFX13: s_sext_i32_i16 vcc_lo, s0               ; encoding: [0x00,0x1a,0xea,0xbe]

s_sext_i32_i16 exec_lo, s0
// GFX13: s_sext_i32_i16 exec_lo, s0              ; encoding: [0x00,0x1a,0xfe,0xbe]

s_sext_i32_i16 m0, s0
// GFX13: s_sext_i32_i16 m0, s0                   ; encoding: [0x00,0x1a,0xfd,0xbe]

s_sext_i32_i16 null, s0
// GFX13: s_sext_i32_i16 null, s0                 ; encoding: [0x00,0x1a,0xfc,0xbe]

s_sext_i32_i16 s0, s105
// GFX13: s_sext_i32_i16 s0, s105                 ; encoding: [0x69,0x1a,0x80,0xbe]

s_sext_i32_i16 s0, vcc_lo
// GFX13: s_sext_i32_i16 s0, vcc_lo               ; encoding: [0x6a,0x1a,0x80,0xbe]

s_sext_i32_i16 s0, exec_lo
// GFX13: s_sext_i32_i16 s0, exec_lo              ; encoding: [0x7e,0x1a,0x80,0xbe]

s_sext_i32_i16 s0, m0
// GFX13: s_sext_i32_i16 s0, m0                   ; encoding: [0x7d,0x1a,0x80,0xbe]

s_sext_i32_i16 s0, null
// GFX13: s_sext_i32_i16 s0, null                 ; encoding: [0x7c,0x1a,0x80,0xbe]

s_sext_i32_i16 s0, 0
// GFX13: s_sext_i32_i16 s0, 0                    ; encoding: [0x80,0x1a,0x80,0xbe]

s_sext_i32_i16 s0, 0.5
// GFX13: s_sext_i32_i16 s0, 0.5                  ; encoding: [0xf0,0x1a,0x80,0xbe]

s_sext_i32_i16 s0, 0x1234
// GFX13: s_sext_i32_i16 s0, 0x1234               ; encoding: [0xff,0x1a,0x80,0xbe,0x34,0x12,0x00,0x00]

s_bitset0_b32 s105, s0
// GFX13: s_bitset0_b32 s105, s0                  ; encoding: [0x00,0x1b,0xe9,0xbe]

s_bitset0_b32 vcc_lo, s0
// GFX13: s_bitset0_b32 vcc_lo, s0                ; encoding: [0x00,0x1b,0xea,0xbe]

s_bitset0_b32 exec_lo, s0
// GFX13: s_bitset0_b32 exec_lo, s0               ; encoding: [0x00,0x1b,0xfe,0xbe]

s_bitset0_b32 m0, s0
// GFX13: s_bitset0_b32 m0, s0                    ; encoding: [0x00,0x1b,0xfd,0xbe]

s_bitset0_b32 null, s0
// GFX13: s_bitset0_b32 null, s0                  ; encoding: [0x00,0x1b,0xfc,0xbe]

s_bitset0_b32 s0, s105
// GFX13: s_bitset0_b32 s0, s105                  ; encoding: [0x69,0x1b,0x80,0xbe]

s_bitset0_b32 s0, vcc_lo
// GFX13: s_bitset0_b32 s0, vcc_lo                ; encoding: [0x6a,0x1b,0x80,0xbe]

s_bitset0_b32 s0, exec_lo
// GFX13: s_bitset0_b32 s0, exec_lo               ; encoding: [0x7e,0x1b,0x80,0xbe]

s_bitset0_b32 s0, m0
// GFX13: s_bitset0_b32 s0, m0                    ; encoding: [0x7d,0x1b,0x80,0xbe]

s_bitset0_b32 s0, null
// GFX13: s_bitset0_b32 s0, null                  ; encoding: [0x7c,0x1b,0x80,0xbe]

s_bitset0_b32 s0, 0
// GFX13: s_bitset0_b32 s0, 0                     ; encoding: [0x80,0x1b,0x80,0xbe]

s_bitset0_b32 s0, 0.5
// GFX13: s_bitset0_b32 s0, 0.5                   ; encoding: [0xf0,0x1b,0x80,0xbe]

s_bitset0_b32 s0, 0x12345678
// GFX13: s_bitset0_b32 s0, 0x12345678            ; encoding: [0xff,0x1b,0x80,0xbe,0x78,0x56,0x34,0x12]

s_bitset0_b64 s[104:105], s0
// GFX13: s_bitset0_b64 s[104:105], s0            ; encoding: [0x00,0x1c,0xe8,0xbe]

s_bitset0_b64 vcc, s0
// GFX13: s_bitset0_b64 vcc, s0                   ; encoding: [0x00,0x1c,0xea,0xbe]

s_bitset0_b64 exec, s0
// GFX13: s_bitset0_b64 exec, s0                  ; encoding: [0x00,0x1c,0xfe,0xbe]

s_bitset0_b64 null, s0
// GFX13: s_bitset0_b64 null, s0                  ; encoding: [0x00,0x1c,0xfc,0xbe]

s_bitset0_b64 s[0:1], s105
// GFX13: s_bitset0_b64 s[0:1], s105              ; encoding: [0x69,0x1c,0x80,0xbe]

s_bitset0_b64 s[0:1], vcc_lo
// GFX13: s_bitset0_b64 s[0:1], vcc_lo            ; encoding: [0x6a,0x1c,0x80,0xbe]

s_bitset0_b64 s[0:1], exec_lo
// GFX13: s_bitset0_b64 s[0:1], exec_lo           ; encoding: [0x7e,0x1c,0x80,0xbe]

s_bitset0_b64 s[0:1], m0
// GFX13: s_bitset0_b64 s[0:1], m0                ; encoding: [0x7d,0x1c,0x80,0xbe]

s_bitset0_b64 s[0:1], null
// GFX13: s_bitset0_b64 s[0:1], null              ; encoding: [0x7c,0x1c,0x80,0xbe]

s_bitset0_b64 s[0:1], 0
// GFX13: s_bitset0_b64 s[0:1], 0                 ; encoding: [0x80,0x1c,0x80,0xbe]

s_bitset0_b64 s[0:1], 0.5
// GFX13: s_bitset0_b64 s[0:1], 0.5               ; encoding: [0xf0,0x1c,0x80,0xbe]

s_bitset0_b64 s[0:1], 0x12345678
// GFX13: s_bitset0_b64 s[0:1], 0x12345678        ; encoding: [0xff,0x1c,0x80,0xbe,0x78,0x56,0x34,0x12]

s_bitset1_b32 s105, s0
// GFX13: s_bitset1_b32 s105, s0                  ; encoding: [0x00,0x1d,0xe9,0xbe]

s_bitset1_b32 vcc_lo, s0
// GFX13: s_bitset1_b32 vcc_lo, s0                ; encoding: [0x00,0x1d,0xea,0xbe]

s_bitset1_b32 exec_lo, s0
// GFX13: s_bitset1_b32 exec_lo, s0               ; encoding: [0x00,0x1d,0xfe,0xbe]

s_bitset1_b32 m0, s0
// GFX13: s_bitset1_b32 m0, s0                    ; encoding: [0x00,0x1d,0xfd,0xbe]

s_bitset1_b32 null, s0
// GFX13: s_bitset1_b32 null, s0                  ; encoding: [0x00,0x1d,0xfc,0xbe]

s_bitset1_b32 s0, s105
// GFX13: s_bitset1_b32 s0, s105                  ; encoding: [0x69,0x1d,0x80,0xbe]

s_bitset1_b32 s0, vcc_lo
// GFX13: s_bitset1_b32 s0, vcc_lo                ; encoding: [0x6a,0x1d,0x80,0xbe]

s_bitset1_b32 s0, exec_lo
// GFX13: s_bitset1_b32 s0, exec_lo               ; encoding: [0x7e,0x1d,0x80,0xbe]

s_bitset1_b32 s0, m0
// GFX13: s_bitset1_b32 s0, m0                    ; encoding: [0x7d,0x1d,0x80,0xbe]

s_bitset1_b32 s0, null
// GFX13: s_bitset1_b32 s0, null                  ; encoding: [0x7c,0x1d,0x80,0xbe]

s_bitset1_b32 s0, 0
// GFX13: s_bitset1_b32 s0, 0                     ; encoding: [0x80,0x1d,0x80,0xbe]

s_bitset1_b32 s0, 0.5
// GFX13: s_bitset1_b32 s0, 0.5                   ; encoding: [0xf0,0x1d,0x80,0xbe]

s_bitset1_b32 s0, 0x12345678
// GFX13: s_bitset1_b32 s0, 0x12345678            ; encoding: [0xff,0x1d,0x80,0xbe,0x78,0x56,0x34,0x12]

s_bitset1_b64 s[104:105], s0
// GFX13: s_bitset1_b64 s[104:105], s0            ; encoding: [0x00,0x1e,0xe8,0xbe]

s_bitset1_b64 vcc, s0
// GFX13: s_bitset1_b64 vcc, s0                   ; encoding: [0x00,0x1e,0xea,0xbe]

s_bitset1_b64 exec, s0
// GFX13: s_bitset1_b64 exec, s0                  ; encoding: [0x00,0x1e,0xfe,0xbe]

s_bitset1_b64 null, s0
// GFX13: s_bitset1_b64 null, s0                  ; encoding: [0x00,0x1e,0xfc,0xbe]

s_bitset1_b64 s[0:1], s105
// GFX13: s_bitset1_b64 s[0:1], s105              ; encoding: [0x69,0x1e,0x80,0xbe]

s_bitset1_b64 s[0:1], vcc_lo
// GFX13: s_bitset1_b64 s[0:1], vcc_lo            ; encoding: [0x6a,0x1e,0x80,0xbe]

s_bitset1_b64 s[0:1], exec_lo
// GFX13: s_bitset1_b64 s[0:1], exec_lo           ; encoding: [0x7e,0x1e,0x80,0xbe]

s_bitset1_b64 s[0:1], m0
// GFX13: s_bitset1_b64 s[0:1], m0                ; encoding: [0x7d,0x1e,0x80,0xbe]

s_bitset1_b64 s[0:1], null
// GFX13: s_bitset1_b64 s[0:1], null              ; encoding: [0x7c,0x1e,0x80,0xbe]

s_bitset1_b64 s[0:1], 0
// GFX13: s_bitset1_b64 s[0:1], 0                 ; encoding: [0x80,0x1e,0x80,0xbe]

s_bitset1_b64 s[0:1], 0.5
// GFX13: s_bitset1_b64 s[0:1], 0.5               ; encoding: [0xf0,0x1e,0x80,0xbe]

s_bitset1_b64 s[0:1], 0x12345678
// GFX13: s_bitset1_b64 s[0:1], 0x12345678        ; encoding: [0xff,0x1e,0x80,0xbe,0x78,0x56,0x34,0x12]

s_get_pc_i64 s[104:105]
// GFX13: s_get_pc_i64 s[104:105]                 ; encoding: [0x00,0x1f,0xe8,0xbe]

s_get_pc_i64 vcc
// GFX13: s_get_pc_i64 vcc                        ; encoding: [0x00,0x1f,0xea,0xbe]

s_get_pc_i64 exec
// GFX13: s_get_pc_i64 exec                       ; encoding: [0x00,0x1f,0xfe,0xbe]

s_get_pc_i64 null
// GFX13: s_get_pc_i64 null                       ; encoding: [0x00,0x1f,0xfc,0xbe]

s_set_pc_i64 s[104:105]
// GFX13: s_set_pc_i64 s[104:105]                 ; encoding: [0x68,0x20,0x80,0xbe]

s_set_pc_i64 vcc
// GFX13: s_set_pc_i64 vcc                        ; encoding: [0x6a,0x20,0x80,0xbe]

s_set_pc_i64 exec
// GFX13: s_set_pc_i64 exec                       ; encoding: [0x7e,0x20,0x80,0xbe]

s_set_pc_i64 null
// GFX13: s_set_pc_i64 null                       ; encoding: [0x7c,0x20,0x80,0xbe]

s_swap_pc_i64 s[104:105], s[0:1]
// GFX13: s_swap_pc_i64 s[104:105], s[0:1]        ; encoding: [0x00,0x21,0xe8,0xbe]

s_swap_pc_i64 vcc, s[0:1]
// GFX13: s_swap_pc_i64 vcc, s[0:1]               ; encoding: [0x00,0x21,0xea,0xbe]

s_swap_pc_i64 exec, s[0:1]
// GFX13: s_swap_pc_i64 exec, s[0:1]              ; encoding: [0x00,0x21,0xfe,0xbe]

s_swap_pc_i64 null, s[0:1]
// GFX13: s_swap_pc_i64 null, s[0:1]              ; encoding: [0x00,0x21,0xfc,0xbe]

s_swap_pc_i64 s[0:1], s[104:105]
// GFX13: s_swap_pc_i64 s[0:1], s[104:105]        ; encoding: [0x68,0x21,0x80,0xbe]

s_swap_pc_i64 s[0:1], vcc
// GFX13: s_swap_pc_i64 s[0:1], vcc               ; encoding: [0x6a,0x21,0x80,0xbe]

s_swap_pc_i64 s[0:1], exec
// GFX13: s_swap_pc_i64 s[0:1], exec              ; encoding: [0x7e,0x21,0x80,0xbe]

s_swap_pc_i64 s[0:1], null
// GFX13: s_swap_pc_i64 s[0:1], null              ; encoding: [0x7c,0x21,0x80,0xbe]

s_swap_pc_i64 s[0:1], 0
// GFX13: s_swap_pc_i64 s[0:1], 0                 ; encoding: [0x80,0x21,0x80,0xbe]

s_swap_pc_i64 s[0:1], 0.5
// GFX13: s_swap_pc_i64 s[0:1], 0.5               ; encoding: [0xf0,0x21,0x80,0xbe]

s_swap_pc_i64 s[0:1], 0x123456789abcdef0
// GFX13: s_swap_pc_i64 s[0:1], 0x123456789abcdef0 ; encoding: [0xfe,0x21,0x80,0xbe,0xf0,0xde,0xbc,0x9a,0x78,0x56,0x34,0x12]

s_rfe_i64 s[104:105]
// GFX13: s_rfe_i64 s[104:105]                    ; encoding: [0x68,0x22,0x80,0xbe]

s_rfe_i64 vcc
// GFX13: s_rfe_i64 vcc                           ; encoding: [0x6a,0x22,0x80,0xbe]

s_rfe_i64 exec
// GFX13: s_rfe_i64 exec                          ; encoding: [0x7e,0x22,0x80,0xbe]

s_rfe_i64 null
// GFX13: s_rfe_i64 null                          ; encoding: [0x7c,0x22,0x80,0xbe]

s_and_saveexec_b64 s[104:105], s[0:1]
// GFX13: s_and_saveexec_b64 s[104:105], s[0:1]   ; encoding: [0x00,0x24,0xe8,0xbe]

s_and_saveexec_b64 vcc, s[0:1]
// GFX13: s_and_saveexec_b64 vcc, s[0:1]          ; encoding: [0x00,0x24,0xea,0xbe]

s_and_saveexec_b64 exec, s[0:1]
// GFX13: s_and_saveexec_b64 exec, s[0:1]         ; encoding: [0x00,0x24,0xfe,0xbe]

s_and_saveexec_b64 null, s[0:1]
// GFX13: s_and_saveexec_b64 null, s[0:1]         ; encoding: [0x00,0x24,0xfc,0xbe]

s_and_saveexec_b64 s[0:1], s[104:105]
// GFX13: s_and_saveexec_b64 s[0:1], s[104:105]   ; encoding: [0x68,0x24,0x80,0xbe]

s_and_saveexec_b64 s[0:1], vcc
// GFX13: s_and_saveexec_b64 s[0:1], vcc          ; encoding: [0x6a,0x24,0x80,0xbe]

s_and_saveexec_b64 s[0:1], exec
// GFX13: s_and_saveexec_b64 s[0:1], exec         ; encoding: [0x7e,0x24,0x80,0xbe]

s_and_saveexec_b64 s[0:1], null
// GFX13: s_and_saveexec_b64 s[0:1], null         ; encoding: [0x7c,0x24,0x80,0xbe]

s_and_saveexec_b64 s[0:1], 0
// GFX13: s_and_saveexec_b64 s[0:1], 0            ; encoding: [0x80,0x24,0x80,0xbe]

s_and_saveexec_b64 s[0:1], 0.5
// GFX13: s_and_saveexec_b64 s[0:1], 0.5          ; encoding: [0xf0,0x24,0x80,0xbe]

s_and_saveexec_b64 s[0:1], 0x123456789abcdef0
// GFX13: s_and_saveexec_b64 s[0:1], 0x123456789abcdef0 ; encoding: [0xfe,0x24,0x80,0xbe,0xf0,0xde,0xbc,0x9a,0x78,0x56,0x34,0x12]

s_or_saveexec_b64 s[104:105], s[0:1]
// GFX13: s_or_saveexec_b64 s[104:105], s[0:1]    ; encoding: [0x00,0x25,0xe8,0xbe]

s_or_saveexec_b64 vcc, s[0:1]
// GFX13: s_or_saveexec_b64 vcc, s[0:1]           ; encoding: [0x00,0x25,0xea,0xbe]

s_or_saveexec_b64 exec, s[0:1]
// GFX13: s_or_saveexec_b64 exec, s[0:1]          ; encoding: [0x00,0x25,0xfe,0xbe]

s_or_saveexec_b64 null, s[0:1]
// GFX13: s_or_saveexec_b64 null, s[0:1]          ; encoding: [0x00,0x25,0xfc,0xbe]

s_or_saveexec_b64 s[0:1], s[104:105]
// GFX13: s_or_saveexec_b64 s[0:1], s[104:105]    ; encoding: [0x68,0x25,0x80,0xbe]

s_or_saveexec_b64 s[0:1], vcc
// GFX13: s_or_saveexec_b64 s[0:1], vcc           ; encoding: [0x6a,0x25,0x80,0xbe]

s_or_saveexec_b64 s[0:1], exec
// GFX13: s_or_saveexec_b64 s[0:1], exec          ; encoding: [0x7e,0x25,0x80,0xbe]

s_or_saveexec_b64 s[0:1], null
// GFX13: s_or_saveexec_b64 s[0:1], null          ; encoding: [0x7c,0x25,0x80,0xbe]

s_or_saveexec_b64 s[0:1], 0
// GFX13: s_or_saveexec_b64 s[0:1], 0             ; encoding: [0x80,0x25,0x80,0xbe]

s_or_saveexec_b64 s[0:1], 0.5
// GFX13: s_or_saveexec_b64 s[0:1], 0.5           ; encoding: [0xf0,0x25,0x80,0xbe]

s_or_saveexec_b64 s[0:1], 0x123456789abcdef0
// GFX13: s_or_saveexec_b64 s[0:1], 0x123456789abcdef0 ; encoding: [0xfe,0x25,0x80,0xbe,0xf0,0xde,0xbc,0x9a,0x78,0x56,0x34,0x12]

s_xor_saveexec_b64 s[104:105], s[0:1]
// GFX13: s_xor_saveexec_b64 s[104:105], s[0:1]   ; encoding: [0x00,0x26,0xe8,0xbe]

s_xor_saveexec_b64 vcc, s[0:1]
// GFX13: s_xor_saveexec_b64 vcc, s[0:1]          ; encoding: [0x00,0x26,0xea,0xbe]

s_xor_saveexec_b64 exec, s[0:1]
// GFX13: s_xor_saveexec_b64 exec, s[0:1]         ; encoding: [0x00,0x26,0xfe,0xbe]

s_xor_saveexec_b64 null, s[0:1]
// GFX13: s_xor_saveexec_b64 null, s[0:1]         ; encoding: [0x00,0x26,0xfc,0xbe]

s_xor_saveexec_b64 s[0:1], s[104:105]
// GFX13: s_xor_saveexec_b64 s[0:1], s[104:105]   ; encoding: [0x68,0x26,0x80,0xbe]

s_xor_saveexec_b64 s[0:1], vcc
// GFX13: s_xor_saveexec_b64 s[0:1], vcc          ; encoding: [0x6a,0x26,0x80,0xbe]

s_xor_saveexec_b64 s[0:1], exec
// GFX13: s_xor_saveexec_b64 s[0:1], exec         ; encoding: [0x7e,0x26,0x80,0xbe]

s_xor_saveexec_b64 s[0:1], null
// GFX13: s_xor_saveexec_b64 s[0:1], null         ; encoding: [0x7c,0x26,0x80,0xbe]

s_xor_saveexec_b64 s[0:1], 0
// GFX13: s_xor_saveexec_b64 s[0:1], 0            ; encoding: [0x80,0x26,0x80,0xbe]

s_xor_saveexec_b64 s[0:1], 0.5
// GFX13: s_xor_saveexec_b64 s[0:1], 0.5          ; encoding: [0xf0,0x26,0x80,0xbe]

s_xor_saveexec_b64 s[0:1], 0x123456789abcdef0
// GFX13: s_xor_saveexec_b64 s[0:1], 0x123456789abcdef0 ; encoding: [0xfe,0x26,0x80,0xbe,0xf0,0xde,0xbc,0x9a,0x78,0x56,0x34,0x12]

s_and_not1_saveexec_b64 s[104:105], s[0:1]
// GFX13: s_and_not1_saveexec_b64 s[104:105], s[0:1] ; encoding: [0x00,0x27,0xe8,0xbe]

s_and_not1_saveexec_b64 vcc, s[0:1]
// GFX13: s_and_not1_saveexec_b64 vcc, s[0:1]     ; encoding: [0x00,0x27,0xea,0xbe]

s_and_not1_saveexec_b64 exec, s[0:1]
// GFX13: s_and_not1_saveexec_b64 exec, s[0:1]    ; encoding: [0x00,0x27,0xfe,0xbe]

s_and_not1_saveexec_b64 null, s[0:1]
// GFX13: s_and_not1_saveexec_b64 null, s[0:1]    ; encoding: [0x00,0x27,0xfc,0xbe]

s_and_not1_saveexec_b64 s[0:1], s[104:105]
// GFX13: s_and_not1_saveexec_b64 s[0:1], s[104:105] ; encoding: [0x68,0x27,0x80,0xbe]

s_and_not1_saveexec_b64 s[0:1], vcc
// GFX13: s_and_not1_saveexec_b64 s[0:1], vcc     ; encoding: [0x6a,0x27,0x80,0xbe]

s_and_not1_saveexec_b64 s[0:1], exec
// GFX13: s_and_not1_saveexec_b64 s[0:1], exec    ; encoding: [0x7e,0x27,0x80,0xbe]

s_and_not1_saveexec_b64 s[0:1], null
// GFX13: s_and_not1_saveexec_b64 s[0:1], null    ; encoding: [0x7c,0x27,0x80,0xbe]

s_and_not1_saveexec_b64 s[0:1], 0
// GFX13: s_and_not1_saveexec_b64 s[0:1], 0       ; encoding: [0x80,0x27,0x80,0xbe]

s_and_not1_saveexec_b64 s[0:1], 0.5
// GFX13: s_and_not1_saveexec_b64 s[0:1], 0.5     ; encoding: [0xf0,0x27,0x80,0xbe]

s_and_not1_saveexec_b64 s[0:1], 0x123456789abcdef0
// GFX13: s_and_not1_saveexec_b64 s[0:1], 0x123456789abcdef0 ; encoding: [0xfe,0x27,0x80,0xbe,0xf0,0xde,0xbc,0x9a,0x78,0x56,0x34,0x12]

s_or_not1_saveexec_b64 s[104:105], s[0:1]
// GFX13: s_or_not1_saveexec_b64 s[104:105], s[0:1] ; encoding: [0x00,0x28,0xe8,0xbe]

s_or_not1_saveexec_b64 vcc, s[0:1]
// GFX13: s_or_not1_saveexec_b64 vcc, s[0:1]      ; encoding: [0x00,0x28,0xea,0xbe]

s_or_not1_saveexec_b64 exec, s[0:1]
// GFX13: s_or_not1_saveexec_b64 exec, s[0:1]     ; encoding: [0x00,0x28,0xfe,0xbe]

s_or_not1_saveexec_b64 null, s[0:1]
// GFX13: s_or_not1_saveexec_b64 null, s[0:1]     ; encoding: [0x00,0x28,0xfc,0xbe]

s_or_not1_saveexec_b64 s[0:1], s[104:105]
// GFX13: s_or_not1_saveexec_b64 s[0:1], s[104:105] ; encoding: [0x68,0x28,0x80,0xbe]

s_or_not1_saveexec_b64 s[0:1], vcc
// GFX13: s_or_not1_saveexec_b64 s[0:1], vcc      ; encoding: [0x6a,0x28,0x80,0xbe]

s_or_not1_saveexec_b64 s[0:1], exec
// GFX13: s_or_not1_saveexec_b64 s[0:1], exec     ; encoding: [0x7e,0x28,0x80,0xbe]

s_or_not1_saveexec_b64 s[0:1], null
// GFX13: s_or_not1_saveexec_b64 s[0:1], null     ; encoding: [0x7c,0x28,0x80,0xbe]

s_or_not1_saveexec_b64 s[0:1], 0
// GFX13: s_or_not1_saveexec_b64 s[0:1], 0        ; encoding: [0x80,0x28,0x80,0xbe]

s_or_not1_saveexec_b64 s[0:1], 0.5
// GFX13: s_or_not1_saveexec_b64 s[0:1], 0.5      ; encoding: [0xf0,0x28,0x80,0xbe]

s_or_not1_saveexec_b64 s[0:1], 0x123456789abcdef0
// GFX13: s_or_not1_saveexec_b64 s[0:1], 0x123456789abcdef0 ; encoding: [0xfe,0x28,0x80,0xbe,0xf0,0xde,0xbc,0x9a,0x78,0x56,0x34,0x12]

s_nand_saveexec_b64 s[104:105], s[0:1]
// GFX13: s_nand_saveexec_b64 s[104:105], s[0:1]  ; encoding: [0x00,0x29,0xe8,0xbe]

s_nand_saveexec_b64 vcc, s[0:1]
// GFX13: s_nand_saveexec_b64 vcc, s[0:1]         ; encoding: [0x00,0x29,0xea,0xbe]

s_nand_saveexec_b64 exec, s[0:1]
// GFX13: s_nand_saveexec_b64 exec, s[0:1]        ; encoding: [0x00,0x29,0xfe,0xbe]

s_nand_saveexec_b64 null, s[0:1]
// GFX13: s_nand_saveexec_b64 null, s[0:1]        ; encoding: [0x00,0x29,0xfc,0xbe]

s_nand_saveexec_b64 s[0:1], s[104:105]
// GFX13: s_nand_saveexec_b64 s[0:1], s[104:105]  ; encoding: [0x68,0x29,0x80,0xbe]

s_nand_saveexec_b64 s[0:1], vcc
// GFX13: s_nand_saveexec_b64 s[0:1], vcc         ; encoding: [0x6a,0x29,0x80,0xbe]

s_nand_saveexec_b64 s[0:1], exec
// GFX13: s_nand_saveexec_b64 s[0:1], exec        ; encoding: [0x7e,0x29,0x80,0xbe]

s_nand_saveexec_b64 s[0:1], null
// GFX13: s_nand_saveexec_b64 s[0:1], null        ; encoding: [0x7c,0x29,0x80,0xbe]

s_nand_saveexec_b64 s[0:1], 0
// GFX13: s_nand_saveexec_b64 s[0:1], 0           ; encoding: [0x80,0x29,0x80,0xbe]

s_nand_saveexec_b64 s[0:1], 0.5
// GFX13: s_nand_saveexec_b64 s[0:1], 0.5         ; encoding: [0xf0,0x29,0x80,0xbe]

s_nand_saveexec_b64 s[0:1], 0x123456789abcdef0
// GFX13: s_nand_saveexec_b64 s[0:1], 0x123456789abcdef0 ; encoding: [0xfe,0x29,0x80,0xbe,0xf0,0xde,0xbc,0x9a,0x78,0x56,0x34,0x12]

s_nor_saveexec_b64 s[104:105], s[0:1]
// GFX13: s_nor_saveexec_b64 s[104:105], s[0:1]   ; encoding: [0x00,0x2a,0xe8,0xbe]

s_nor_saveexec_b64 vcc, s[0:1]
// GFX13: s_nor_saveexec_b64 vcc, s[0:1]          ; encoding: [0x00,0x2a,0xea,0xbe]

s_nor_saveexec_b64 exec, s[0:1]
// GFX13: s_nor_saveexec_b64 exec, s[0:1]         ; encoding: [0x00,0x2a,0xfe,0xbe]

s_nor_saveexec_b64 null, s[0:1]
// GFX13: s_nor_saveexec_b64 null, s[0:1]         ; encoding: [0x00,0x2a,0xfc,0xbe]

s_nor_saveexec_b64 s[0:1], s[104:105]
// GFX13: s_nor_saveexec_b64 s[0:1], s[104:105]   ; encoding: [0x68,0x2a,0x80,0xbe]

s_nor_saveexec_b64 s[0:1], vcc
// GFX13: s_nor_saveexec_b64 s[0:1], vcc          ; encoding: [0x6a,0x2a,0x80,0xbe]

s_nor_saveexec_b64 s[0:1], exec
// GFX13: s_nor_saveexec_b64 s[0:1], exec         ; encoding: [0x7e,0x2a,0x80,0xbe]

s_nor_saveexec_b64 s[0:1], null
// GFX13: s_nor_saveexec_b64 s[0:1], null         ; encoding: [0x7c,0x2a,0x80,0xbe]

s_nor_saveexec_b64 s[0:1], 0
// GFX13: s_nor_saveexec_b64 s[0:1], 0            ; encoding: [0x80,0x2a,0x80,0xbe]

s_nor_saveexec_b64 s[0:1], 0.5
// GFX13: s_nor_saveexec_b64 s[0:1], 0.5          ; encoding: [0xf0,0x2a,0x80,0xbe]

s_nor_saveexec_b64 s[0:1], 0x123456789abcdef0
// GFX13: s_nor_saveexec_b64 s[0:1], 0x123456789abcdef0 ; encoding: [0xfe,0x2a,0x80,0xbe,0xf0,0xde,0xbc,0x9a,0x78,0x56,0x34,0x12]

s_xnor_saveexec_b64 s[104:105], s[0:1]
// GFX13: s_xnor_saveexec_b64 s[104:105], s[0:1]  ; encoding: [0x00,0x2b,0xe8,0xbe]

s_xnor_saveexec_b64 vcc, s[0:1]
// GFX13: s_xnor_saveexec_b64 vcc, s[0:1]         ; encoding: [0x00,0x2b,0xea,0xbe]

s_xnor_saveexec_b64 exec, s[0:1]
// GFX13: s_xnor_saveexec_b64 exec, s[0:1]        ; encoding: [0x00,0x2b,0xfe,0xbe]

s_xnor_saveexec_b64 null, s[0:1]
// GFX13: s_xnor_saveexec_b64 null, s[0:1]        ; encoding: [0x00,0x2b,0xfc,0xbe]

s_xnor_saveexec_b64 s[0:1], s[104:105]
// GFX13: s_xnor_saveexec_b64 s[0:1], s[104:105]  ; encoding: [0x68,0x2b,0x80,0xbe]

s_xnor_saveexec_b64 s[0:1], vcc
// GFX13: s_xnor_saveexec_b64 s[0:1], vcc         ; encoding: [0x6a,0x2b,0x80,0xbe]

s_xnor_saveexec_b64 s[0:1], exec
// GFX13: s_xnor_saveexec_b64 s[0:1], exec        ; encoding: [0x7e,0x2b,0x80,0xbe]

s_xnor_saveexec_b64 s[0:1], null
// GFX13: s_xnor_saveexec_b64 s[0:1], null        ; encoding: [0x7c,0x2b,0x80,0xbe]

s_xnor_saveexec_b64 s[0:1], 0
// GFX13: s_xnor_saveexec_b64 s[0:1], 0           ; encoding: [0x80,0x2b,0x80,0xbe]

s_xnor_saveexec_b64 s[0:1], 0.5
// GFX13: s_xnor_saveexec_b64 s[0:1], 0.5         ; encoding: [0xf0,0x2b,0x80,0xbe]

s_xnor_saveexec_b64 s[0:1], 0x123456789abcdef0
// GFX13: s_xnor_saveexec_b64 s[0:1], 0x123456789abcdef0 ; encoding: [0xfe,0x2b,0x80,0xbe,0xf0,0xde,0xbc,0x9a,0x78,0x56,0x34,0x12]

s_quadmask_b32 s105, s0
// GFX13: s_quadmask_b32 s105, s0                 ; encoding: [0x00,0x2c,0xe9,0xbe]

s_quadmask_b32 vcc_lo, s0
// GFX13: s_quadmask_b32 vcc_lo, s0               ; encoding: [0x00,0x2c,0xea,0xbe]

s_quadmask_b32 exec_lo, s0
// GFX13: s_quadmask_b32 exec_lo, s0              ; encoding: [0x00,0x2c,0xfe,0xbe]

s_quadmask_b32 m0, s0
// GFX13: s_quadmask_b32 m0, s0                   ; encoding: [0x00,0x2c,0xfd,0xbe]

s_quadmask_b32 null, s0
// GFX13: s_quadmask_b32 null, s0                 ; encoding: [0x00,0x2c,0xfc,0xbe]

s_quadmask_b32 s0, s105
// GFX13: s_quadmask_b32 s0, s105                 ; encoding: [0x69,0x2c,0x80,0xbe]

s_quadmask_b32 s0, vcc_lo
// GFX13: s_quadmask_b32 s0, vcc_lo               ; encoding: [0x6a,0x2c,0x80,0xbe]

s_quadmask_b32 s0, exec_lo
// GFX13: s_quadmask_b32 s0, exec_lo              ; encoding: [0x7e,0x2c,0x80,0xbe]

s_quadmask_b32 s0, m0
// GFX13: s_quadmask_b32 s0, m0                   ; encoding: [0x7d,0x2c,0x80,0xbe]

s_quadmask_b32 s0, null
// GFX13: s_quadmask_b32 s0, null                 ; encoding: [0x7c,0x2c,0x80,0xbe]

s_quadmask_b32 s0, 0
// GFX13: s_quadmask_b32 s0, 0                    ; encoding: [0x80,0x2c,0x80,0xbe]

s_quadmask_b32 s0, 0.5
// GFX13: s_quadmask_b32 s0, 0.5                  ; encoding: [0xf0,0x2c,0x80,0xbe]

s_quadmask_b32 s0, 0x12345678
// GFX13: s_quadmask_b32 s0, 0x12345678           ; encoding: [0xff,0x2c,0x80,0xbe,0x78,0x56,0x34,0x12]

s_quadmask_b64 s[104:105], s[0:1]
// GFX13: s_quadmask_b64 s[104:105], s[0:1]       ; encoding: [0x00,0x2d,0xe8,0xbe]

s_quadmask_b64 vcc, s[0:1]
// GFX13: s_quadmask_b64 vcc, s[0:1]              ; encoding: [0x00,0x2d,0xea,0xbe]

s_quadmask_b64 exec, s[0:1]
// GFX13: s_quadmask_b64 exec, s[0:1]             ; encoding: [0x00,0x2d,0xfe,0xbe]

s_quadmask_b64 null, s[0:1]
// GFX13: s_quadmask_b64 null, s[0:1]             ; encoding: [0x00,0x2d,0xfc,0xbe]

s_quadmask_b64 s[0:1], s[104:105]
// GFX13: s_quadmask_b64 s[0:1], s[104:105]       ; encoding: [0x68,0x2d,0x80,0xbe]

s_quadmask_b64 s[0:1], vcc
// GFX13: s_quadmask_b64 s[0:1], vcc              ; encoding: [0x6a,0x2d,0x80,0xbe]

s_quadmask_b64 s[0:1], exec
// GFX13: s_quadmask_b64 s[0:1], exec             ; encoding: [0x7e,0x2d,0x80,0xbe]

s_quadmask_b64 s[0:1], null
// GFX13: s_quadmask_b64 s[0:1], null             ; encoding: [0x7c,0x2d,0x80,0xbe]

s_quadmask_b64 s[0:1], 0
// GFX13: s_quadmask_b64 s[0:1], 0                ; encoding: [0x80,0x2d,0x80,0xbe]

s_quadmask_b64 s[0:1], 0.5
// GFX13: s_quadmask_b64 s[0:1], 0.5              ; encoding: [0xf0,0x2d,0x80,0xbe]

s_quadmask_b64 s[0:1], 0x123456789abcdef0
// GFX13: s_quadmask_b64 s[0:1], 0x123456789abcdef0 ; encoding: [0xfe,0x2d,0x80,0xbe,0xf0,0xde,0xbc,0x9a,0x78,0x56,0x34,0x12]

s_movrels_b32 s105, s0
// GFX13: s_movrels_b32 s105, s0                  ; encoding: [0x00,0x2e,0xe9,0xbe]

s_movrels_b32 vcc_lo, s0
// GFX13: s_movrels_b32 vcc_lo, s0                ; encoding: [0x00,0x2e,0xea,0xbe]

s_movrels_b32 exec_lo, s0
// GFX13: s_movrels_b32 exec_lo, s0               ; encoding: [0x00,0x2e,0xfe,0xbe]

s_movrels_b32 m0, s0
// GFX13: s_movrels_b32 m0, s0                    ; encoding: [0x00,0x2e,0xfd,0xbe]

s_movrels_b32 null, s0
// GFX13: s_movrels_b32 null, s0                  ; encoding: [0x00,0x2e,0xfc,0xbe]

s_movrels_b32 s0, s105
// GFX13: s_movrels_b32 s0, s105                  ; encoding: [0x69,0x2e,0x80,0xbe]

s_movrels_b32 s0, vcc_lo
// GFX13: s_movrels_b32 s0, vcc_lo                ; encoding: [0x6a,0x2e,0x80,0xbe]

s_movrels_b32 s0, exec_lo
// GFX13: s_movrels_b32 s0, exec_lo               ; encoding: [0x7e,0x2e,0x80,0xbe]

s_movrels_b32 s0, m0
// GFX13: s_movrels_b32 s0, m0                    ; encoding: [0x7d,0x2e,0x80,0xbe]

s_movrels_b32 s0, null
// GFX13: s_movrels_b32 s0, null                  ; encoding: [0x7c,0x2e,0x80,0xbe]

s_movrels_b64 s[104:105], s[0:1]
// GFX13: s_movrels_b64 s[104:105], s[0:1]        ; encoding: [0x00,0x2f,0xe8,0xbe]

s_movrels_b64 vcc, s[0:1]
// GFX13: s_movrels_b64 vcc, s[0:1]               ; encoding: [0x00,0x2f,0xea,0xbe]

s_movrels_b64 exec, s[0:1]
// GFX13: s_movrels_b64 exec, s[0:1]              ; encoding: [0x00,0x2f,0xfe,0xbe]

s_movrels_b64 null, s[0:1]
// GFX13: s_movrels_b64 null, s[0:1]              ; encoding: [0x00,0x2f,0xfc,0xbe]

s_movrels_b64 s[0:1], s[104:105]
// GFX13: s_movrels_b64 s[0:1], s[104:105]        ; encoding: [0x68,0x2f,0x80,0xbe]

s_movrels_b64 s[0:1], vcc
// GFX13: s_movrels_b64 s[0:1], vcc               ; encoding: [0x6a,0x2f,0x80,0xbe]

s_movrels_b64 s[0:1], exec
// GFX13: s_movrels_b64 s[0:1], exec              ; encoding: [0x7e,0x2f,0x80,0xbe]

s_movrels_b64 s[0:1], null
// GFX13: s_movrels_b64 s[0:1], null              ; encoding: [0x7c,0x2f,0x80,0xbe]

s_movreld_b32 s105, s0
// GFX13: s_movreld_b32 s105, s0                  ; encoding: [0x00,0x30,0xe9,0xbe]

s_movreld_b32 vcc_lo, s0
// GFX13: s_movreld_b32 vcc_lo, s0                ; encoding: [0x00,0x30,0xea,0xbe]

s_movreld_b32 exec_lo, s0
// GFX13: s_movreld_b32 exec_lo, s0               ; encoding: [0x00,0x30,0xfe,0xbe]

s_movreld_b32 m0, s0
// GFX13: s_movreld_b32 m0, s0                    ; encoding: [0x00,0x30,0xfd,0xbe]

s_movreld_b32 null, s0
// GFX13: s_movreld_b32 null, s0                  ; encoding: [0x00,0x30,0xfc,0xbe]

s_movreld_b32 s0, s105
// GFX13: s_movreld_b32 s0, s105                  ; encoding: [0x69,0x30,0x80,0xbe]

s_movreld_b32 s0, vcc_lo
// GFX13: s_movreld_b32 s0, vcc_lo                ; encoding: [0x6a,0x30,0x80,0xbe]

s_movreld_b32 s0, exec_lo
// GFX13: s_movreld_b32 s0, exec_lo               ; encoding: [0x7e,0x30,0x80,0xbe]

s_movreld_b32 s0, m0
// GFX13: s_movreld_b32 s0, m0                    ; encoding: [0x7d,0x30,0x80,0xbe]

s_movreld_b32 s0, null
// GFX13: s_movreld_b32 s0, null                  ; encoding: [0x7c,0x30,0x80,0xbe]

s_movreld_b32 s0, 0
// GFX13: s_movreld_b32 s0, 0                     ; encoding: [0x80,0x30,0x80,0xbe]

s_movreld_b32 s0, 0.5
// GFX13: s_movreld_b32 s0, 0.5                   ; encoding: [0xf0,0x30,0x80,0xbe]

s_movreld_b32 s0, 0x12345678
// GFX13: s_movreld_b32 s0, 0x12345678            ; encoding: [0xff,0x30,0x80,0xbe,0x78,0x56,0x34,0x12]

s_movreld_b64 s[104:105], s[0:1]
// GFX13: s_movreld_b64 s[104:105], s[0:1]        ; encoding: [0x00,0x31,0xe8,0xbe]

s_movreld_b64 vcc, s[0:1]
// GFX13: s_movreld_b64 vcc, s[0:1]               ; encoding: [0x00,0x31,0xea,0xbe]

s_movreld_b64 exec, s[0:1]
// GFX13: s_movreld_b64 exec, s[0:1]              ; encoding: [0x00,0x31,0xfe,0xbe]

s_movreld_b64 null, s[0:1]
// GFX13: s_movreld_b64 null, s[0:1]              ; encoding: [0x00,0x31,0xfc,0xbe]

s_movreld_b64 s[0:1], s[104:105]
// GFX13: s_movreld_b64 s[0:1], s[104:105]        ; encoding: [0x68,0x31,0x80,0xbe]

s_movreld_b64 s[0:1], vcc
// GFX13: s_movreld_b64 s[0:1], vcc               ; encoding: [0x6a,0x31,0x80,0xbe]

s_movreld_b64 s[0:1], exec
// GFX13: s_movreld_b64 s[0:1], exec              ; encoding: [0x7e,0x31,0x80,0xbe]

s_movreld_b64 s[0:1], null
// GFX13: s_movreld_b64 s[0:1], null              ; encoding: [0x7c,0x31,0x80,0xbe]

s_movreld_b64 s[0:1], 0
// GFX13: s_movreld_b64 s[0:1], 0                 ; encoding: [0x80,0x31,0x80,0xbe]

s_movreld_b64 s[0:1], 0.5
// GFX13: s_movreld_b64 s[0:1], 0.5               ; encoding: [0xf0,0x31,0x80,0xbe]

s_movreld_b64 s[0:1], 0x123456789abcdef0
// GFX13: s_movreld_b64 s[0:1], 0x123456789abcdef0 ; encoding: [0xfe,0x31,0x80,0xbe,0xf0,0xde,0xbc,0x9a,0x78,0x56,0x34,0x12]

s_abs_i32 s105, s0
// GFX13: s_abs_i32 s105, s0                      ; encoding: [0x00,0x34,0xe9,0xbe]

s_abs_i32 vcc_lo, s0
// GFX13: s_abs_i32 vcc_lo, s0                    ; encoding: [0x00,0x34,0xea,0xbe]

s_abs_i32 exec_lo, s0
// GFX13: s_abs_i32 exec_lo, s0                   ; encoding: [0x00,0x34,0xfe,0xbe]

s_abs_i32 m0, s0
// GFX13: s_abs_i32 m0, s0                        ; encoding: [0x00,0x34,0xfd,0xbe]

s_abs_i32 null, s0
// GFX13: s_abs_i32 null, s0                      ; encoding: [0x00,0x34,0xfc,0xbe]

s_abs_i32 s0, s105
// GFX13: s_abs_i32 s0, s105                      ; encoding: [0x69,0x34,0x80,0xbe]

s_abs_i32 s0, vcc_lo
// GFX13: s_abs_i32 s0, vcc_lo                    ; encoding: [0x6a,0x34,0x80,0xbe]

s_abs_i32 s0, exec_lo
// GFX13: s_abs_i32 s0, exec_lo                   ; encoding: [0x7e,0x34,0x80,0xbe]

s_abs_i32 s0, m0
// GFX13: s_abs_i32 s0, m0                        ; encoding: [0x7d,0x34,0x80,0xbe]

s_abs_i32 s0, null
// GFX13: s_abs_i32 s0, null                      ; encoding: [0x7c,0x34,0x80,0xbe]

s_abs_i32 s0, 0
// GFX13: s_abs_i32 s0, 0                         ; encoding: [0x80,0x34,0x80,0xbe]

s_abs_i32 s0, 0.5
// GFX13: s_abs_i32 s0, 0.5                       ; encoding: [0xf0,0x34,0x80,0xbe]

s_abs_i32 s0, 0x12345678
// GFX13: s_abs_i32 s0, 0x12345678                ; encoding: [0xff,0x34,0x80,0xbe,0x78,0x56,0x34,0x12]

s_and_not0_saveexec_b64 s[104:105], s[0:1]
// GFX13: s_and_not0_saveexec_b64 s[104:105], s[0:1] ; encoding: [0x00,0x37,0xe8,0xbe]

s_and_not0_saveexec_b64 vcc, s[0:1]
// GFX13: s_and_not0_saveexec_b64 vcc, s[0:1]     ; encoding: [0x00,0x37,0xea,0xbe]

s_and_not0_saveexec_b64 exec, s[0:1]
// GFX13: s_and_not0_saveexec_b64 exec, s[0:1]    ; encoding: [0x00,0x37,0xfe,0xbe]

s_and_not0_saveexec_b64 null, s[0:1]
// GFX13: s_and_not0_saveexec_b64 null, s[0:1]    ; encoding: [0x00,0x37,0xfc,0xbe]

s_and_not0_saveexec_b64 s[0:1], s[104:105]
// GFX13: s_and_not0_saveexec_b64 s[0:1], s[104:105] ; encoding: [0x68,0x37,0x80,0xbe]

s_and_not0_saveexec_b64 s[0:1], vcc
// GFX13: s_and_not0_saveexec_b64 s[0:1], vcc     ; encoding: [0x6a,0x37,0x80,0xbe]

s_and_not0_saveexec_b64 s[0:1], exec
// GFX13: s_and_not0_saveexec_b64 s[0:1], exec    ; encoding: [0x7e,0x37,0x80,0xbe]

s_and_not0_saveexec_b64 s[0:1], null
// GFX13: s_and_not0_saveexec_b64 s[0:1], null    ; encoding: [0x7c,0x37,0x80,0xbe]

s_and_not0_saveexec_b64 s[0:1], 0
// GFX13: s_and_not0_saveexec_b64 s[0:1], 0       ; encoding: [0x80,0x37,0x80,0xbe]

s_and_not0_saveexec_b64 s[0:1], 0.5
// GFX13: s_and_not0_saveexec_b64 s[0:1], 0.5     ; encoding: [0xf0,0x37,0x80,0xbe]

s_and_not0_saveexec_b64 s[0:1], 0x123456789abcdef0
// GFX13: s_and_not0_saveexec_b64 s[0:1], 0x123456789abcdef0 ; encoding: [0xfe,0x37,0x80,0xbe,0xf0,0xde,0xbc,0x9a,0x78,0x56,0x34,0x12]

s_or_not0_saveexec_b64 s[104:105], s[0:1]
// GFX13: s_or_not0_saveexec_b64 s[104:105], s[0:1] ; encoding: [0x00,0x38,0xe8,0xbe]

s_or_not0_saveexec_b64 vcc, s[0:1]
// GFX13: s_or_not0_saveexec_b64 vcc, s[0:1]      ; encoding: [0x00,0x38,0xea,0xbe]

s_or_not0_saveexec_b64 exec, s[0:1]
// GFX13: s_or_not0_saveexec_b64 exec, s[0:1]     ; encoding: [0x00,0x38,0xfe,0xbe]

s_or_not0_saveexec_b64 null, s[0:1]
// GFX13: s_or_not0_saveexec_b64 null, s[0:1]     ; encoding: [0x00,0x38,0xfc,0xbe]

s_or_not0_saveexec_b64 s[0:1], s[104:105]
// GFX13: s_or_not0_saveexec_b64 s[0:1], s[104:105] ; encoding: [0x68,0x38,0x80,0xbe]

s_or_not0_saveexec_b64 s[0:1], vcc
// GFX13: s_or_not0_saveexec_b64 s[0:1], vcc      ; encoding: [0x6a,0x38,0x80,0xbe]

s_or_not0_saveexec_b64 s[0:1], exec
// GFX13: s_or_not0_saveexec_b64 s[0:1], exec     ; encoding: [0x7e,0x38,0x80,0xbe]

s_or_not0_saveexec_b64 s[0:1], null
// GFX13: s_or_not0_saveexec_b64 s[0:1], null     ; encoding: [0x7c,0x38,0x80,0xbe]

s_or_not0_saveexec_b64 s[0:1], 0
// GFX13: s_or_not0_saveexec_b64 s[0:1], 0        ; encoding: [0x80,0x38,0x80,0xbe]

s_or_not0_saveexec_b64 s[0:1], 0.5
// GFX13: s_or_not0_saveexec_b64 s[0:1], 0.5      ; encoding: [0xf0,0x38,0x80,0xbe]

s_or_not0_saveexec_b64 s[0:1], 0x123456789abcdef0
// GFX13: s_or_not0_saveexec_b64 s[0:1], 0x123456789abcdef0 ; encoding: [0xfe,0x38,0x80,0xbe,0xf0,0xde,0xbc,0x9a,0x78,0x56,0x34,0x12]

s_and_not0_wrexec_b64 s[104:105], s[0:1]
// GFX13: s_and_not0_wrexec_b64 s[104:105], s[0:1] ; encoding: [0x00,0x39,0xe8,0xbe]

s_and_not0_wrexec_b64 vcc, s[0:1]
// GFX13: s_and_not0_wrexec_b64 vcc, s[0:1]       ; encoding: [0x00,0x39,0xea,0xbe]

s_and_not0_wrexec_b64 exec, s[0:1]
// GFX13: s_and_not0_wrexec_b64 exec, s[0:1]      ; encoding: [0x00,0x39,0xfe,0xbe]

s_and_not0_wrexec_b64 null, s[0:1]
// GFX13: s_and_not0_wrexec_b64 null, s[0:1]      ; encoding: [0x00,0x39,0xfc,0xbe]

s_and_not0_wrexec_b64 s[0:1], s[104:105]
// GFX13: s_and_not0_wrexec_b64 s[0:1], s[104:105] ; encoding: [0x68,0x39,0x80,0xbe]

s_and_not0_wrexec_b64 s[0:1], vcc
// GFX13: s_and_not0_wrexec_b64 s[0:1], vcc       ; encoding: [0x6a,0x39,0x80,0xbe]

s_and_not0_wrexec_b64 s[0:1], exec
// GFX13: s_and_not0_wrexec_b64 s[0:1], exec      ; encoding: [0x7e,0x39,0x80,0xbe]

s_and_not0_wrexec_b64 s[0:1], null
// GFX13: s_and_not0_wrexec_b64 s[0:1], null      ; encoding: [0x7c,0x39,0x80,0xbe]

s_and_not0_wrexec_b64 s[0:1], 0
// GFX13: s_and_not0_wrexec_b64 s[0:1], 0         ; encoding: [0x80,0x39,0x80,0xbe]

s_and_not0_wrexec_b64 s[0:1], 0.5
// GFX13: s_and_not0_wrexec_b64 s[0:1], 0.5       ; encoding: [0xf0,0x39,0x80,0xbe]

s_and_not0_wrexec_b64 s[0:1], 0x123456789abcdef0
// GFX13: s_and_not0_wrexec_b64 s[0:1], 0x123456789abcdef0 ; encoding: [0xfe,0x39,0x80,0xbe,0xf0,0xde,0xbc,0x9a,0x78,0x56,0x34,0x12]

s_and_not1_wrexec_b64 s[104:105], s[0:1]
// GFX13: s_and_not1_wrexec_b64 s[104:105], s[0:1] ; encoding: [0x00,0x3a,0xe8,0xbe]

s_and_not1_wrexec_b64 vcc, s[0:1]
// GFX13: s_and_not1_wrexec_b64 vcc, s[0:1]       ; encoding: [0x00,0x3a,0xea,0xbe]

s_and_not1_wrexec_b64 exec, s[0:1]
// GFX13: s_and_not1_wrexec_b64 exec, s[0:1]      ; encoding: [0x00,0x3a,0xfe,0xbe]

s_and_not1_wrexec_b64 null, s[0:1]
// GFX13: s_and_not1_wrexec_b64 null, s[0:1]      ; encoding: [0x00,0x3a,0xfc,0xbe]

s_and_not1_wrexec_b64 s[0:1], s[104:105]
// GFX13: s_and_not1_wrexec_b64 s[0:1], s[104:105] ; encoding: [0x68,0x3a,0x80,0xbe]

s_and_not1_wrexec_b64 s[0:1], vcc
// GFX13: s_and_not1_wrexec_b64 s[0:1], vcc       ; encoding: [0x6a,0x3a,0x80,0xbe]

s_and_not1_wrexec_b64 s[0:1], exec
// GFX13: s_and_not1_wrexec_b64 s[0:1], exec      ; encoding: [0x7e,0x3a,0x80,0xbe]

s_and_not1_wrexec_b64 s[0:1], null
// GFX13: s_and_not1_wrexec_b64 s[0:1], null      ; encoding: [0x7c,0x3a,0x80,0xbe]

s_and_not1_wrexec_b64 s[0:1], 0
// GFX13: s_and_not1_wrexec_b64 s[0:1], 0         ; encoding: [0x80,0x3a,0x80,0xbe]

s_and_not1_wrexec_b64 s[0:1], 0.5
// GFX13: s_and_not1_wrexec_b64 s[0:1], 0.5       ; encoding: [0xf0,0x3a,0x80,0xbe]

s_and_not1_wrexec_b64 s[0:1], 0x123456789abcdef0
// GFX13: s_and_not1_wrexec_b64 s[0:1], 0x123456789abcdef0 ; encoding: [0xfe,0x3a,0x80,0xbe,0xf0,0xde,0xbc,0x9a,0x78,0x56,0x34,0x12]

s_bitreplicate_b64_b32 s[104:105], s0
// GFX13: s_bitreplicate_b64_b32 s[104:105], s0   ; encoding: [0x00,0x3b,0xe8,0xbe]

s_bitreplicate_b64_b32 vcc, s0
// GFX13: s_bitreplicate_b64_b32 vcc, s0          ; encoding: [0x00,0x3b,0xea,0xbe]

s_bitreplicate_b64_b32 exec, s0
// GFX13: s_bitreplicate_b64_b32 exec, s0         ; encoding: [0x00,0x3b,0xfe,0xbe]

s_bitreplicate_b64_b32 null, s0
// GFX13: s_bitreplicate_b64_b32 null, s0         ; encoding: [0x00,0x3b,0xfc,0xbe]

s_bitreplicate_b64_b32 s[0:1], s105
// GFX13: s_bitreplicate_b64_b32 s[0:1], s105     ; encoding: [0x69,0x3b,0x80,0xbe]

s_bitreplicate_b64_b32 s[0:1], vcc_lo
// GFX13: s_bitreplicate_b64_b32 s[0:1], vcc_lo   ; encoding: [0x6a,0x3b,0x80,0xbe]

s_bitreplicate_b64_b32 s[0:1], exec_lo
// GFX13: s_bitreplicate_b64_b32 s[0:1], exec_lo  ; encoding: [0x7e,0x3b,0x80,0xbe]

s_bitreplicate_b64_b32 s[0:1], m0
// GFX13: s_bitreplicate_b64_b32 s[0:1], m0       ; encoding: [0x7d,0x3b,0x80,0xbe]

s_bitreplicate_b64_b32 s[0:1], null
// GFX13: s_bitreplicate_b64_b32 s[0:1], null     ; encoding: [0x7c,0x3b,0x80,0xbe]

s_bitreplicate_b64_b32 s[0:1], 0
// GFX13: s_bitreplicate_b64_b32 s[0:1], 0        ; encoding: [0x80,0x3b,0x80,0xbe]

s_bitreplicate_b64_b32 s[0:1], 0.5
// GFX13: s_bitreplicate_b64_b32 s[0:1], 0.5      ; encoding: [0xf0,0x3b,0x80,0xbe]

s_bitreplicate_b64_b32 s[0:1], 0x12345678
// GFX13: s_bitreplicate_b64_b32 s[0:1], 0x12345678 ; encoding: [0xff,0x3b,0x80,0xbe,0x78,0x56,0x34,0x12]

s_and_saveexec_b32 s105, s0
// GFX13: s_and_saveexec_b32 s105, s0             ; encoding: [0x00,0x3c,0xe9,0xbe]

s_and_saveexec_b32 vcc_lo, s0
// GFX13: s_and_saveexec_b32 vcc_lo, s0           ; encoding: [0x00,0x3c,0xea,0xbe]

s_and_saveexec_b32 exec_lo, s0
// GFX13: s_and_saveexec_b32 exec_lo, s0          ; encoding: [0x00,0x3c,0xfe,0xbe]

s_and_saveexec_b32 m0, s0
// GFX13: s_and_saveexec_b32 m0, s0               ; encoding: [0x00,0x3c,0xfd,0xbe]

s_and_saveexec_b32 null, s0
// GFX13: s_and_saveexec_b32 null, s0             ; encoding: [0x00,0x3c,0xfc,0xbe]

s_and_saveexec_b32 s0, s105
// GFX13: s_and_saveexec_b32 s0, s105             ; encoding: [0x69,0x3c,0x80,0xbe]

s_and_saveexec_b32 s0, vcc_lo
// GFX13: s_and_saveexec_b32 s0, vcc_lo           ; encoding: [0x6a,0x3c,0x80,0xbe]

s_and_saveexec_b32 s0, exec_lo
// GFX13: s_and_saveexec_b32 s0, exec_lo          ; encoding: [0x7e,0x3c,0x80,0xbe]

s_and_saveexec_b32 s0, m0
// GFX13: s_and_saveexec_b32 s0, m0               ; encoding: [0x7d,0x3c,0x80,0xbe]

s_and_saveexec_b32 s0, null
// GFX13: s_and_saveexec_b32 s0, null             ; encoding: [0x7c,0x3c,0x80,0xbe]

s_and_saveexec_b32 s0, 0
// GFX13: s_and_saveexec_b32 s0, 0                ; encoding: [0x80,0x3c,0x80,0xbe]

s_and_saveexec_b32 s0, 0.5
// GFX13: s_and_saveexec_b32 s0, 0.5              ; encoding: [0xf0,0x3c,0x80,0xbe]

s_and_saveexec_b32 s0, 0x12345678
// GFX13: s_and_saveexec_b32 s0, 0x12345678       ; encoding: [0xff,0x3c,0x80,0xbe,0x78,0x56,0x34,0x12]

s_or_saveexec_b32 s105, s0
// GFX13: s_or_saveexec_b32 s105, s0              ; encoding: [0x00,0x3d,0xe9,0xbe]

s_or_saveexec_b32 vcc_lo, s0
// GFX13: s_or_saveexec_b32 vcc_lo, s0            ; encoding: [0x00,0x3d,0xea,0xbe]

s_or_saveexec_b32 exec_lo, s0
// GFX13: s_or_saveexec_b32 exec_lo, s0           ; encoding: [0x00,0x3d,0xfe,0xbe]

s_or_saveexec_b32 m0, s0
// GFX13: s_or_saveexec_b32 m0, s0                ; encoding: [0x00,0x3d,0xfd,0xbe]

s_or_saveexec_b32 null, s0
// GFX13: s_or_saveexec_b32 null, s0              ; encoding: [0x00,0x3d,0xfc,0xbe]

s_or_saveexec_b32 s0, s105
// GFX13: s_or_saveexec_b32 s0, s105              ; encoding: [0x69,0x3d,0x80,0xbe]

s_or_saveexec_b32 s0, vcc_lo
// GFX13: s_or_saveexec_b32 s0, vcc_lo            ; encoding: [0x6a,0x3d,0x80,0xbe]

s_or_saveexec_b32 s0, exec_lo
// GFX13: s_or_saveexec_b32 s0, exec_lo           ; encoding: [0x7e,0x3d,0x80,0xbe]

s_or_saveexec_b32 s0, m0
// GFX13: s_or_saveexec_b32 s0, m0                ; encoding: [0x7d,0x3d,0x80,0xbe]

s_or_saveexec_b32 s0, null
// GFX13: s_or_saveexec_b32 s0, null              ; encoding: [0x7c,0x3d,0x80,0xbe]

s_or_saveexec_b32 s0, 0
// GFX13: s_or_saveexec_b32 s0, 0                 ; encoding: [0x80,0x3d,0x80,0xbe]

s_or_saveexec_b32 s0, 0.5
// GFX13: s_or_saveexec_b32 s0, 0.5               ; encoding: [0xf0,0x3d,0x80,0xbe]

s_or_saveexec_b32 s0, 0x12345678
// GFX13: s_or_saveexec_b32 s0, 0x12345678        ; encoding: [0xff,0x3d,0x80,0xbe,0x78,0x56,0x34,0x12]

s_xor_saveexec_b32 s105, s0
// GFX13: s_xor_saveexec_b32 s105, s0             ; encoding: [0x00,0x3e,0xe9,0xbe]

s_xor_saveexec_b32 vcc_lo, s0
// GFX13: s_xor_saveexec_b32 vcc_lo, s0           ; encoding: [0x00,0x3e,0xea,0xbe]

s_xor_saveexec_b32 exec_lo, s0
// GFX13: s_xor_saveexec_b32 exec_lo, s0          ; encoding: [0x00,0x3e,0xfe,0xbe]

s_xor_saveexec_b32 m0, s0
// GFX13: s_xor_saveexec_b32 m0, s0               ; encoding: [0x00,0x3e,0xfd,0xbe]

s_xor_saveexec_b32 null, s0
// GFX13: s_xor_saveexec_b32 null, s0             ; encoding: [0x00,0x3e,0xfc,0xbe]

s_xor_saveexec_b32 s0, s105
// GFX13: s_xor_saveexec_b32 s0, s105             ; encoding: [0x69,0x3e,0x80,0xbe]

s_xor_saveexec_b32 s0, vcc_lo
// GFX13: s_xor_saveexec_b32 s0, vcc_lo           ; encoding: [0x6a,0x3e,0x80,0xbe]

s_xor_saveexec_b32 s0, exec_lo
// GFX13: s_xor_saveexec_b32 s0, exec_lo          ; encoding: [0x7e,0x3e,0x80,0xbe]

s_xor_saveexec_b32 s0, m0
// GFX13: s_xor_saveexec_b32 s0, m0               ; encoding: [0x7d,0x3e,0x80,0xbe]

s_xor_saveexec_b32 s0, null
// GFX13: s_xor_saveexec_b32 s0, null             ; encoding: [0x7c,0x3e,0x80,0xbe]

s_xor_saveexec_b32 s0, 0
// GFX13: s_xor_saveexec_b32 s0, 0                ; encoding: [0x80,0x3e,0x80,0xbe]

s_xor_saveexec_b32 s0, 0.5
// GFX13: s_xor_saveexec_b32 s0, 0.5              ; encoding: [0xf0,0x3e,0x80,0xbe]

s_xor_saveexec_b32 s0, 0x12345678
// GFX13: s_xor_saveexec_b32 s0, 0x12345678       ; encoding: [0xff,0x3e,0x80,0xbe,0x78,0x56,0x34,0x12]

s_and_not1_saveexec_b32 s105, s0
// GFX13: s_and_not1_saveexec_b32 s105, s0        ; encoding: [0x00,0x3f,0xe9,0xbe]

s_and_not1_saveexec_b32 vcc_lo, s0
// GFX13: s_and_not1_saveexec_b32 vcc_lo, s0      ; encoding: [0x00,0x3f,0xea,0xbe]

s_and_not1_saveexec_b32 exec_lo, s0
// GFX13: s_and_not1_saveexec_b32 exec_lo, s0     ; encoding: [0x00,0x3f,0xfe,0xbe]

s_and_not1_saveexec_b32 m0, s0
// GFX13: s_and_not1_saveexec_b32 m0, s0          ; encoding: [0x00,0x3f,0xfd,0xbe]

s_and_not1_saveexec_b32 null, s0
// GFX13: s_and_not1_saveexec_b32 null, s0        ; encoding: [0x00,0x3f,0xfc,0xbe]

s_and_not1_saveexec_b32 s0, s105
// GFX13: s_and_not1_saveexec_b32 s0, s105        ; encoding: [0x69,0x3f,0x80,0xbe]

s_and_not1_saveexec_b32 s0, vcc_lo
// GFX13: s_and_not1_saveexec_b32 s0, vcc_lo      ; encoding: [0x6a,0x3f,0x80,0xbe]

s_and_not1_saveexec_b32 s0, exec_lo
// GFX13: s_and_not1_saveexec_b32 s0, exec_lo     ; encoding: [0x7e,0x3f,0x80,0xbe]

s_and_not1_saveexec_b32 s0, m0
// GFX13: s_and_not1_saveexec_b32 s0, m0          ; encoding: [0x7d,0x3f,0x80,0xbe]

s_and_not1_saveexec_b32 s0, null
// GFX13: s_and_not1_saveexec_b32 s0, null        ; encoding: [0x7c,0x3f,0x80,0xbe]

s_and_not1_saveexec_b32 s0, 0
// GFX13: s_and_not1_saveexec_b32 s0, 0           ; encoding: [0x80,0x3f,0x80,0xbe]

s_and_not1_saveexec_b32 s0, 0.5
// GFX13: s_and_not1_saveexec_b32 s0, 0.5         ; encoding: [0xf0,0x3f,0x80,0xbe]

s_and_not1_saveexec_b32 s0, 0x12345678
// GFX13: s_and_not1_saveexec_b32 s0, 0x12345678  ; encoding: [0xff,0x3f,0x80,0xbe,0x78,0x56,0x34,0x12]

s_or_not1_saveexec_b32 s105, s0
// GFX13: s_or_not1_saveexec_b32 s105, s0         ; encoding: [0x00,0x40,0xe9,0xbe]

s_or_not1_saveexec_b32 vcc_lo, s0
// GFX13: s_or_not1_saveexec_b32 vcc_lo, s0       ; encoding: [0x00,0x40,0xea,0xbe]

s_or_not1_saveexec_b32 exec_lo, s0
// GFX13: s_or_not1_saveexec_b32 exec_lo, s0      ; encoding: [0x00,0x40,0xfe,0xbe]

s_or_not1_saveexec_b32 m0, s0
// GFX13: s_or_not1_saveexec_b32 m0, s0           ; encoding: [0x00,0x40,0xfd,0xbe]

s_or_not1_saveexec_b32 null, s0
// GFX13: s_or_not1_saveexec_b32 null, s0         ; encoding: [0x00,0x40,0xfc,0xbe]

s_or_not1_saveexec_b32 s0, s105
// GFX13: s_or_not1_saveexec_b32 s0, s105         ; encoding: [0x69,0x40,0x80,0xbe]

s_or_not1_saveexec_b32 s0, vcc_lo
// GFX13: s_or_not1_saveexec_b32 s0, vcc_lo       ; encoding: [0x6a,0x40,0x80,0xbe]

s_or_not1_saveexec_b32 s0, exec_lo
// GFX13: s_or_not1_saveexec_b32 s0, exec_lo      ; encoding: [0x7e,0x40,0x80,0xbe]

s_or_not1_saveexec_b32 s0, m0
// GFX13: s_or_not1_saveexec_b32 s0, m0           ; encoding: [0x7d,0x40,0x80,0xbe]

s_or_not1_saveexec_b32 s0, null
// GFX13: s_or_not1_saveexec_b32 s0, null         ; encoding: [0x7c,0x40,0x80,0xbe]

s_or_not1_saveexec_b32 s0, 0
// GFX13: s_or_not1_saveexec_b32 s0, 0            ; encoding: [0x80,0x40,0x80,0xbe]

s_or_not1_saveexec_b32 s0, 0.5
// GFX13: s_or_not1_saveexec_b32 s0, 0.5          ; encoding: [0xf0,0x40,0x80,0xbe]

s_or_not1_saveexec_b32 s0, 0x12345678
// GFX13: s_or_not1_saveexec_b32 s0, 0x12345678   ; encoding: [0xff,0x40,0x80,0xbe,0x78,0x56,0x34,0x12]

s_nand_saveexec_b32 s105, s0
// GFX13: s_nand_saveexec_b32 s105, s0            ; encoding: [0x00,0x41,0xe9,0xbe]

s_nand_saveexec_b32 vcc_lo, s0
// GFX13: s_nand_saveexec_b32 vcc_lo, s0          ; encoding: [0x00,0x41,0xea,0xbe]

s_nand_saveexec_b32 exec_lo, s0
// GFX13: s_nand_saveexec_b32 exec_lo, s0         ; encoding: [0x00,0x41,0xfe,0xbe]

s_nand_saveexec_b32 m0, s0
// GFX13: s_nand_saveexec_b32 m0, s0              ; encoding: [0x00,0x41,0xfd,0xbe]

s_nand_saveexec_b32 null, s0
// GFX13: s_nand_saveexec_b32 null, s0            ; encoding: [0x00,0x41,0xfc,0xbe]

s_nand_saveexec_b32 s0, s105
// GFX13: s_nand_saveexec_b32 s0, s105            ; encoding: [0x69,0x41,0x80,0xbe]

s_nand_saveexec_b32 s0, vcc_lo
// GFX13: s_nand_saveexec_b32 s0, vcc_lo          ; encoding: [0x6a,0x41,0x80,0xbe]

s_nand_saveexec_b32 s0, exec_lo
// GFX13: s_nand_saveexec_b32 s0, exec_lo         ; encoding: [0x7e,0x41,0x80,0xbe]

s_nand_saveexec_b32 s0, m0
// GFX13: s_nand_saveexec_b32 s0, m0              ; encoding: [0x7d,0x41,0x80,0xbe]

s_nand_saveexec_b32 s0, null
// GFX13: s_nand_saveexec_b32 s0, null            ; encoding: [0x7c,0x41,0x80,0xbe]

s_nand_saveexec_b32 s0, 0
// GFX13: s_nand_saveexec_b32 s0, 0               ; encoding: [0x80,0x41,0x80,0xbe]

s_nand_saveexec_b32 s0, 0.5
// GFX13: s_nand_saveexec_b32 s0, 0.5             ; encoding: [0xf0,0x41,0x80,0xbe]

s_nand_saveexec_b32 s0, 0x12345678
// GFX13: s_nand_saveexec_b32 s0, 0x12345678      ; encoding: [0xff,0x41,0x80,0xbe,0x78,0x56,0x34,0x12]

s_nor_saveexec_b32 s105, s0
// GFX13: s_nor_saveexec_b32 s105, s0             ; encoding: [0x00,0x42,0xe9,0xbe]

s_nor_saveexec_b32 vcc_lo, s0
// GFX13: s_nor_saveexec_b32 vcc_lo, s0           ; encoding: [0x00,0x42,0xea,0xbe]

s_nor_saveexec_b32 exec_lo, s0
// GFX13: s_nor_saveexec_b32 exec_lo, s0          ; encoding: [0x00,0x42,0xfe,0xbe]

s_nor_saveexec_b32 m0, s0
// GFX13: s_nor_saveexec_b32 m0, s0               ; encoding: [0x00,0x42,0xfd,0xbe]

s_nor_saveexec_b32 null, s0
// GFX13: s_nor_saveexec_b32 null, s0             ; encoding: [0x00,0x42,0xfc,0xbe]

s_nor_saveexec_b32 s0, s105
// GFX13: s_nor_saveexec_b32 s0, s105             ; encoding: [0x69,0x42,0x80,0xbe]

s_nor_saveexec_b32 s0, vcc_lo
// GFX13: s_nor_saveexec_b32 s0, vcc_lo           ; encoding: [0x6a,0x42,0x80,0xbe]

s_nor_saveexec_b32 s0, exec_lo
// GFX13: s_nor_saveexec_b32 s0, exec_lo          ; encoding: [0x7e,0x42,0x80,0xbe]

s_nor_saveexec_b32 s0, m0
// GFX13: s_nor_saveexec_b32 s0, m0               ; encoding: [0x7d,0x42,0x80,0xbe]

s_nor_saveexec_b32 s0, null
// GFX13: s_nor_saveexec_b32 s0, null             ; encoding: [0x7c,0x42,0x80,0xbe]

s_nor_saveexec_b32 s0, 0
// GFX13: s_nor_saveexec_b32 s0, 0                ; encoding: [0x80,0x42,0x80,0xbe]

s_nor_saveexec_b32 s0, 0.5
// GFX13: s_nor_saveexec_b32 s0, 0.5              ; encoding: [0xf0,0x42,0x80,0xbe]

s_nor_saveexec_b32 s0, 0x12345678
// GFX13: s_nor_saveexec_b32 s0, 0x12345678       ; encoding: [0xff,0x42,0x80,0xbe,0x78,0x56,0x34,0x12]

s_xnor_saveexec_b32 s105, s0
// GFX13: s_xnor_saveexec_b32 s105, s0            ; encoding: [0x00,0x43,0xe9,0xbe]

s_xnor_saveexec_b32 vcc_lo, s0
// GFX13: s_xnor_saveexec_b32 vcc_lo, s0          ; encoding: [0x00,0x43,0xea,0xbe]

s_xnor_saveexec_b32 exec_lo, s0
// GFX13: s_xnor_saveexec_b32 exec_lo, s0         ; encoding: [0x00,0x43,0xfe,0xbe]

s_xnor_saveexec_b32 m0, s0
// GFX13: s_xnor_saveexec_b32 m0, s0              ; encoding: [0x00,0x43,0xfd,0xbe]

s_xnor_saveexec_b32 null, s0
// GFX13: s_xnor_saveexec_b32 null, s0            ; encoding: [0x00,0x43,0xfc,0xbe]

s_xnor_saveexec_b32 s0, s105
// GFX13: s_xnor_saveexec_b32 s0, s105            ; encoding: [0x69,0x43,0x80,0xbe]

s_xnor_saveexec_b32 s0, vcc_lo
// GFX13: s_xnor_saveexec_b32 s0, vcc_lo          ; encoding: [0x6a,0x43,0x80,0xbe]

s_xnor_saveexec_b32 s0, exec_lo
// GFX13: s_xnor_saveexec_b32 s0, exec_lo         ; encoding: [0x7e,0x43,0x80,0xbe]

s_xnor_saveexec_b32 s0, m0
// GFX13: s_xnor_saveexec_b32 s0, m0              ; encoding: [0x7d,0x43,0x80,0xbe]

s_xnor_saveexec_b32 s0, null
// GFX13: s_xnor_saveexec_b32 s0, null            ; encoding: [0x7c,0x43,0x80,0xbe]

s_xnor_saveexec_b32 s0, 0
// GFX13: s_xnor_saveexec_b32 s0, 0               ; encoding: [0x80,0x43,0x80,0xbe]

s_xnor_saveexec_b32 s0, 0.5
// GFX13: s_xnor_saveexec_b32 s0, 0.5             ; encoding: [0xf0,0x43,0x80,0xbe]

s_xnor_saveexec_b32 s0, 0x12345678
// GFX13: s_xnor_saveexec_b32 s0, 0x12345678      ; encoding: [0xff,0x43,0x80,0xbe,0x78,0x56,0x34,0x12]

s_and_not0_saveexec_b32 s105, s0
// GFX13: s_and_not0_saveexec_b32 s105, s0        ; encoding: [0x00,0x44,0xe9,0xbe]

s_and_not0_saveexec_b32 vcc_lo, s0
// GFX13: s_and_not0_saveexec_b32 vcc_lo, s0      ; encoding: [0x00,0x44,0xea,0xbe]

s_and_not0_saveexec_b32 exec_lo, s0
// GFX13: s_and_not0_saveexec_b32 exec_lo, s0     ; encoding: [0x00,0x44,0xfe,0xbe]

s_and_not0_saveexec_b32 m0, s0
// GFX13: s_and_not0_saveexec_b32 m0, s0          ; encoding: [0x00,0x44,0xfd,0xbe]

s_and_not0_saveexec_b32 null, s0
// GFX13: s_and_not0_saveexec_b32 null, s0        ; encoding: [0x00,0x44,0xfc,0xbe]

s_and_not0_saveexec_b32 s0, s105
// GFX13: s_and_not0_saveexec_b32 s0, s105        ; encoding: [0x69,0x44,0x80,0xbe]

s_and_not0_saveexec_b32 s0, vcc_lo
// GFX13: s_and_not0_saveexec_b32 s0, vcc_lo      ; encoding: [0x6a,0x44,0x80,0xbe]

s_and_not0_saveexec_b32 s0, exec_lo
// GFX13: s_and_not0_saveexec_b32 s0, exec_lo     ; encoding: [0x7e,0x44,0x80,0xbe]

s_and_not0_saveexec_b32 s0, m0
// GFX13: s_and_not0_saveexec_b32 s0, m0          ; encoding: [0x7d,0x44,0x80,0xbe]

s_and_not0_saveexec_b32 s0, null
// GFX13: s_and_not0_saveexec_b32 s0, null        ; encoding: [0x7c,0x44,0x80,0xbe]

s_and_not0_saveexec_b32 s0, 0
// GFX13: s_and_not0_saveexec_b32 s0, 0           ; encoding: [0x80,0x44,0x80,0xbe]

s_and_not0_saveexec_b32 s0, 0.5
// GFX13: s_and_not0_saveexec_b32 s0, 0.5         ; encoding: [0xf0,0x44,0x80,0xbe]

s_and_not0_saveexec_b32 s0, 0x12345678
// GFX13: s_and_not0_saveexec_b32 s0, 0x12345678  ; encoding: [0xff,0x44,0x80,0xbe,0x78,0x56,0x34,0x12]

s_or_not0_saveexec_b32 s105, s0
// GFX13: s_or_not0_saveexec_b32 s105, s0         ; encoding: [0x00,0x45,0xe9,0xbe]

s_or_not0_saveexec_b32 vcc_lo, s0
// GFX13: s_or_not0_saveexec_b32 vcc_lo, s0       ; encoding: [0x00,0x45,0xea,0xbe]

s_or_not0_saveexec_b32 exec_lo, s0
// GFX13: s_or_not0_saveexec_b32 exec_lo, s0      ; encoding: [0x00,0x45,0xfe,0xbe]

s_or_not0_saveexec_b32 m0, s0
// GFX13: s_or_not0_saveexec_b32 m0, s0           ; encoding: [0x00,0x45,0xfd,0xbe]

s_or_not0_saveexec_b32 null, s0
// GFX13: s_or_not0_saveexec_b32 null, s0         ; encoding: [0x00,0x45,0xfc,0xbe]

s_or_not0_saveexec_b32 s0, s105
// GFX13: s_or_not0_saveexec_b32 s0, s105         ; encoding: [0x69,0x45,0x80,0xbe]

s_or_not0_saveexec_b32 s0, vcc_lo
// GFX13: s_or_not0_saveexec_b32 s0, vcc_lo       ; encoding: [0x6a,0x45,0x80,0xbe]

s_or_not0_saveexec_b32 s0, exec_lo
// GFX13: s_or_not0_saveexec_b32 s0, exec_lo      ; encoding: [0x7e,0x45,0x80,0xbe]

s_or_not0_saveexec_b32 s0, m0
// GFX13: s_or_not0_saveexec_b32 s0, m0           ; encoding: [0x7d,0x45,0x80,0xbe]

s_or_not0_saveexec_b32 s0, null
// GFX13: s_or_not0_saveexec_b32 s0, null         ; encoding: [0x7c,0x45,0x80,0xbe]

s_or_not0_saveexec_b32 s0, 0
// GFX13: s_or_not0_saveexec_b32 s0, 0            ; encoding: [0x80,0x45,0x80,0xbe]

s_or_not0_saveexec_b32 s0, 0.5
// GFX13: s_or_not0_saveexec_b32 s0, 0.5          ; encoding: [0xf0,0x45,0x80,0xbe]

s_or_not0_saveexec_b32 s0, 0x12345678
// GFX13: s_or_not0_saveexec_b32 s0, 0x12345678   ; encoding: [0xff,0x45,0x80,0xbe,0x78,0x56,0x34,0x12]

s_and_not0_wrexec_b32 s105, s0
// GFX13: s_and_not0_wrexec_b32 s105, s0          ; encoding: [0x00,0x46,0xe9,0xbe]

s_and_not0_wrexec_b32 vcc_lo, s0
// GFX13: s_and_not0_wrexec_b32 vcc_lo, s0        ; encoding: [0x00,0x46,0xea,0xbe]

s_and_not0_wrexec_b32 exec_lo, s0
// GFX13: s_and_not0_wrexec_b32 exec_lo, s0       ; encoding: [0x00,0x46,0xfe,0xbe]

s_and_not0_wrexec_b32 m0, s0
// GFX13: s_and_not0_wrexec_b32 m0, s0            ; encoding: [0x00,0x46,0xfd,0xbe]

s_and_not0_wrexec_b32 null, s0
// GFX13: s_and_not0_wrexec_b32 null, s0          ; encoding: [0x00,0x46,0xfc,0xbe]

s_and_not0_wrexec_b32 s0, s105
// GFX13: s_and_not0_wrexec_b32 s0, s105          ; encoding: [0x69,0x46,0x80,0xbe]

s_and_not0_wrexec_b32 s0, vcc_lo
// GFX13: s_and_not0_wrexec_b32 s0, vcc_lo        ; encoding: [0x6a,0x46,0x80,0xbe]

s_and_not0_wrexec_b32 s0, exec_lo
// GFX13: s_and_not0_wrexec_b32 s0, exec_lo       ; encoding: [0x7e,0x46,0x80,0xbe]

s_and_not0_wrexec_b32 s0, m0
// GFX13: s_and_not0_wrexec_b32 s0, m0            ; encoding: [0x7d,0x46,0x80,0xbe]

s_and_not0_wrexec_b32 s0, null
// GFX13: s_and_not0_wrexec_b32 s0, null          ; encoding: [0x7c,0x46,0x80,0xbe]

s_and_not0_wrexec_b32 s0, 0
// GFX13: s_and_not0_wrexec_b32 s0, 0             ; encoding: [0x80,0x46,0x80,0xbe]

s_and_not0_wrexec_b32 s0, 0.5
// GFX13: s_and_not0_wrexec_b32 s0, 0.5           ; encoding: [0xf0,0x46,0x80,0xbe]

s_and_not0_wrexec_b32 s0, 0x12345678
// GFX13: s_and_not0_wrexec_b32 s0, 0x12345678    ; encoding: [0xff,0x46,0x80,0xbe,0x78,0x56,0x34,0x12]

s_and_not1_wrexec_b32 s105, s0
// GFX13: s_and_not1_wrexec_b32 s105, s0          ; encoding: [0x00,0x47,0xe9,0xbe]

s_and_not1_wrexec_b32 vcc_lo, s0
// GFX13: s_and_not1_wrexec_b32 vcc_lo, s0        ; encoding: [0x00,0x47,0xea,0xbe]

s_and_not1_wrexec_b32 exec_lo, s0
// GFX13: s_and_not1_wrexec_b32 exec_lo, s0       ; encoding: [0x00,0x47,0xfe,0xbe]

s_and_not1_wrexec_b32 m0, s0
// GFX13: s_and_not1_wrexec_b32 m0, s0            ; encoding: [0x00,0x47,0xfd,0xbe]

s_and_not1_wrexec_b32 null, s0
// GFX13: s_and_not1_wrexec_b32 null, s0          ; encoding: [0x00,0x47,0xfc,0xbe]

s_and_not1_wrexec_b32 s0, s105
// GFX13: s_and_not1_wrexec_b32 s0, s105          ; encoding: [0x69,0x47,0x80,0xbe]

s_and_not1_wrexec_b32 s0, vcc_lo
// GFX13: s_and_not1_wrexec_b32 s0, vcc_lo        ; encoding: [0x6a,0x47,0x80,0xbe]

s_and_not1_wrexec_b32 s0, exec_lo
// GFX13: s_and_not1_wrexec_b32 s0, exec_lo       ; encoding: [0x7e,0x47,0x80,0xbe]

s_and_not1_wrexec_b32 s0, m0
// GFX13: s_and_not1_wrexec_b32 s0, m0            ; encoding: [0x7d,0x47,0x80,0xbe]

s_and_not1_wrexec_b32 s0, null
// GFX13: s_and_not1_wrexec_b32 s0, null          ; encoding: [0x7c,0x47,0x80,0xbe]

s_and_not1_wrexec_b32 s0, 0
// GFX13: s_and_not1_wrexec_b32 s0, 0             ; encoding: [0x80,0x47,0x80,0xbe]

s_and_not1_wrexec_b32 s0, 0.5
// GFX13: s_and_not1_wrexec_b32 s0, 0.5           ; encoding: [0xf0,0x47,0x80,0xbe]

s_and_not1_wrexec_b32 s0, 0x12345678
// GFX13: s_and_not1_wrexec_b32 s0, 0x12345678    ; encoding: [0xff,0x47,0x80,0xbe,0x78,0x56,0x34,0x12]

s_movrelsd_2_b32 s105, s0
// GFX13: s_movrelsd_2_b32 s105, s0               ; encoding: [0x00,0x49,0xe9,0xbe]

s_movrelsd_2_b32 vcc_lo, s0
// GFX13: s_movrelsd_2_b32 vcc_lo, s0             ; encoding: [0x00,0x49,0xea,0xbe]

s_movrelsd_2_b32 exec_lo, s0
// GFX13: s_movrelsd_2_b32 exec_lo, s0            ; encoding: [0x00,0x49,0xfe,0xbe]

s_movrelsd_2_b32 m0, s0
// GFX13: s_movrelsd_2_b32 m0, s0                 ; encoding: [0x00,0x49,0xfd,0xbe]

s_movrelsd_2_b32 null, s0
// GFX13: s_movrelsd_2_b32 null, s0               ; encoding: [0x00,0x49,0xfc,0xbe]

s_movrelsd_2_b32 s0, s105
// GFX13: s_movrelsd_2_b32 s0, s105               ; encoding: [0x69,0x49,0x80,0xbe]

s_movrelsd_2_b32 s0, vcc_lo
// GFX13: s_movrelsd_2_b32 s0, vcc_lo             ; encoding: [0x6a,0x49,0x80,0xbe]

s_movrelsd_2_b32 s0, exec_lo
// GFX13: s_movrelsd_2_b32 s0, exec_lo            ; encoding: [0x7e,0x49,0x80,0xbe]

s_movrelsd_2_b32 s0, m0
// GFX13: s_movrelsd_2_b32 s0, m0                 ; encoding: [0x7d,0x49,0x80,0xbe]

s_movrelsd_2_b32 s0, null
// GFX13: s_movrelsd_2_b32 s0, null               ; encoding: [0x7c,0x49,0x80,0xbe]

s_movrelsd_2_b32 s0, 0
// GFX13: s_movrelsd_2_b32 s0, 0                  ; encoding: [0x80,0x49,0x80,0xbe]

s_movrelsd_2_b32 s0, 0.5
// GFX13: s_movrelsd_2_b32 s0, 0.5                ; encoding: [0xf0,0x49,0x80,0xbe]

s_movrelsd_2_b32 s0, 0x12345678
// GFX13: s_movrelsd_2_b32 s0, 0x12345678         ; encoding: [0xff,0x49,0x80,0xbe,0x78,0x56,0x34,0x12]

s_add_pc_i64 s[104:105]
// GFX13: s_add_pc_i64 s[104:105]                 ; encoding: [0x68,0x4b,0x80,0xbe]

s_add_pc_i64 vcc
// GFX13: s_add_pc_i64 vcc                        ; encoding: [0x6a,0x4b,0x80,0xbe]

s_add_pc_i64 exec
// GFX13: s_add_pc_i64 exec                       ; encoding: [0x7e,0x4b,0x80,0xbe]

s_add_pc_i64 null
// GFX13: s_add_pc_i64 null                       ; encoding: [0x7c,0x4b,0x80,0xbe]

s_add_pc_i64 0
// GFX13: s_add_pc_i64 0                          ; encoding: [0x80,0x4b,0x80,0xbe]

s_add_pc_i64 0.5
// GFX13: s_add_pc_i64 0.5                        ; encoding: [0xf0,0x4b,0x80,0xbe]

s_add_pc_i64 0x123456789abcdef0
// GFX13: s_add_pc_i64 0x123456789abcdef0         ; encoding: [0xfe,0x4b,0x80,0xbe,0xf0,0xde,0xbc,0x9a,0x78,0x56,0x34,0x12]

s_sendmsg_rtn_b32 s105, 0
// GFX13: s_sendmsg_rtn_b32 s105, sendmsg(0, 0, 0) ; encoding: [0x00,0x4c,0xe9,0xbe]

s_sendmsg_rtn_b32 vcc_lo, 0
// GFX13: s_sendmsg_rtn_b32 vcc_lo, sendmsg(0, 0, 0) ; encoding: [0x00,0x4c,0xea,0xbe]

s_sendmsg_rtn_b32 exec_lo, 0
// GFX13: s_sendmsg_rtn_b32 exec_lo, sendmsg(0, 0, 0) ; encoding: [0x00,0x4c,0xfe,0xbe]

s_sendmsg_rtn_b32 m0, 0
// GFX13: s_sendmsg_rtn_b32 m0, sendmsg(0, 0, 0)  ; encoding: [0x00,0x4c,0xfd,0xbe]

s_sendmsg_rtn_b32 null, 0
// GFX13: s_sendmsg_rtn_b32 null, sendmsg(0, 0, 0) ; encoding: [0x00,0x4c,0xfc,0xbe]

s_sendmsg_rtn_b32 s0, 0x1234
// GFX13-ASM: s_sendmsg_rtn_b32 s0, 4660              ; encoding: [0x34,0x4c,0x80,0xbe]
// GFX13-DIS: s_sendmsg_rtn_b32 s0, sendmsg(52, 0, 0) ; encoding: [0x34,0x4c,0x80,0xbe]

s_sendmsg_rtn_b64 s[104:105], 0
// GFX13: s_sendmsg_rtn_b64 s[104:105], sendmsg(0, 0, 0) ; encoding: [0x00,0x4d,0xe8,0xbe]

s_sendmsg_rtn_b64 vcc, 0
// GFX13: s_sendmsg_rtn_b64 vcc, sendmsg(0, 0, 0) ; encoding: [0x00,0x4d,0xea,0xbe]

s_sendmsg_rtn_b64 exec, 0
// GFX13: s_sendmsg_rtn_b64 exec, sendmsg(0, 0, 0) ; encoding: [0x00,0x4d,0xfe,0xbe]

s_sendmsg_rtn_b64 null, 0
// GFX13: s_sendmsg_rtn_b64 null, sendmsg(0, 0, 0) ; encoding: [0x00,0x4d,0xfc,0xbe]

s_sendmsg_rtn_b64 s[0:1], 0x1234
// GFX13-ASM: s_sendmsg_rtn_b64 s[0:1], 4660          ; encoding: [0x34,0x4d,0x80,0xbe]
// GFX13-DIS: s_sendmsg_rtn_b64 s[0:1], sendmsg(52, 0, 0) ; encoding: [0x34,0x4d,0x80,0xbe]

s_barrier_signal m0
// GFX13: s_barrier_signal m0                     ; encoding: [0x7d,0x4e,0x80,0xbe]

s_barrier_signal 0
// GFX13: s_barrier_signal 0                      ; encoding: [0x80,0x4e,0x80,0xbe]

s_barrier_signal 0.5
// GFX13: s_barrier_signal 0.5                    ; encoding: [0xf0,0x4e,0x80,0xbe]

s_barrier_signal_isfirst m0
// GFX13: s_barrier_signal_isfirst m0             ; encoding: [0x7d,0x4f,0x80,0xbe]

s_barrier_signal_isfirst 0
// GFX13: s_barrier_signal_isfirst 0              ; encoding: [0x80,0x4f,0x80,0xbe]

s_barrier_signal_isfirst 0.5
// GFX13: s_barrier_signal_isfirst 0.5            ; encoding: [0xf0,0x4f,0x80,0xbe]

s_get_barrier_state s105, m0
// GFX13: s_get_barrier_state s105, m0            ; encoding: [0x7d,0x50,0xe9,0xbe]

s_get_barrier_state vcc_lo, m0
// GFX13: s_get_barrier_state vcc_lo, m0          ; encoding: [0x7d,0x50,0xea,0xbe]

s_get_barrier_state exec_lo, m0
// GFX13: s_get_barrier_state exec_lo, m0         ; encoding: [0x7d,0x50,0xfe,0xbe]

s_get_barrier_state m0, m0
// GFX13: s_get_barrier_state m0, m0              ; encoding: [0x7d,0x50,0xfd,0xbe]

s_get_barrier_state null, m0
// GFX13: s_get_barrier_state null, m0            ; encoding: [0x7d,0x50,0xfc,0xbe]

s_get_barrier_state s0, 0
// GFX13: s_get_barrier_state s0, 0               ; encoding: [0x80,0x50,0x80,0xbe]

s_get_barrier_state s0, 0.5
// GFX13: s_get_barrier_state s0, 0.5             ; encoding: [0xf0,0x50,0x80,0xbe]

s_barrier_init m0
// GFX13: s_barrier_init m0                       ; encoding: [0x7d,0x51,0x80,0xbe]

s_barrier_join m0
// GFX13: s_barrier_join m0                       ; encoding: [0x7d,0x52,0x80,0xbe]

s_barrier_join 0
// GFX13: s_barrier_join 0                        ; encoding: [0x80,0x52,0x80,0xbe]

s_barrier_join 0.5
// GFX13: s_barrier_join 0.5                      ; encoding: [0xf0,0x52,0x80,0xbe]

s_wakeup_barrier 1
// GFX13: s_wakeup_barrier 1                      ; encoding: [0x81,0x57,0x80,0xbe]

s_wakeup_barrier -1
// GFX13: s_wakeup_barrier -1                     ; encoding: [0xc1,0x57,0x80,0xbe]

s_wakeup_barrier m0
// GFX13: s_wakeup_barrier m0                     ; encoding: [0x7d,0x57,0x80,0xbe]

s_alloc_vgpr s105
// GFX13: s_alloc_vgpr s105                       ; encoding: [0x69,0x53,0x80,0xbe]

s_alloc_vgpr vcc_lo
// GFX13: s_alloc_vgpr vcc_lo                     ; encoding: [0x6a,0x53,0x80,0xbe]

s_alloc_vgpr exec_lo
// GFX13: s_alloc_vgpr exec_lo                    ; encoding: [0x7e,0x53,0x80,0xbe]

s_alloc_vgpr m0
// GFX13: s_alloc_vgpr m0                         ; encoding: [0x7d,0x53,0x80,0xbe]

s_alloc_vgpr null
// GFX13: s_alloc_vgpr null                       ; encoding: [0x7c,0x53,0x80,0xbe]

s_alloc_vgpr 0
// GFX13: s_alloc_vgpr 0                          ; encoding: [0x80,0x53,0x80,0xbe]

s_alloc_vgpr 0.5
// GFX13: s_alloc_vgpr 0.5                        ; encoding: [0xf0,0x53,0x80,0xbe]

s_alloc_vgpr 0x12345678
// GFX13: s_alloc_vgpr 0x12345678                 ; encoding: [0xff,0x53,0x80,0xbe,0x78,0x56,0x34,0x12]

s_sleep_var s105
// GFX13: s_sleep_var s105                        ; encoding: [0x69,0x58,0x80,0xbe]

s_sleep_var vcc_lo
// GFX13: s_sleep_var vcc_lo                      ; encoding: [0x6a,0x58,0x80,0xbe]

s_sleep_var exec_lo
// GFX13: s_sleep_var exec_lo                     ; encoding: [0x7e,0x58,0x80,0xbe]

s_sleep_var m0
// GFX13: s_sleep_var m0                          ; encoding: [0x7d,0x58,0x80,0xbe]

s_sleep_var null
// GFX13: s_sleep_var null                        ; encoding: [0x7c,0x58,0x80,0xbe]

s_sleep_var 0
// GFX13: s_sleep_var 0                           ; encoding: [0x80,0x58,0x80,0xbe]

s_sleep_var 0.5
// GFX13: s_sleep_var 0.5                         ; encoding: [0xf0,0x58,0x80,0xbe]

s_sleep_var 0x12345678
// GFX13: s_sleep_var 0x12345678                  ; encoding: [0xff,0x58,0x80,0xbe,0x78,0x56,0x34,0x12]

s_ceil_f32 s105, s0
// GFX13: s_ceil_f32 s105, s0                     ; encoding: [0x00,0x60,0xe9,0xbe]

s_ceil_f32 vcc_lo, s0
// GFX13: s_ceil_f32 vcc_lo, s0                   ; encoding: [0x00,0x60,0xea,0xbe]

s_ceil_f32 exec_lo, s0
// GFX13: s_ceil_f32 exec_lo, s0                  ; encoding: [0x00,0x60,0xfe,0xbe]

s_ceil_f32 m0, s0
// GFX13: s_ceil_f32 m0, s0                       ; encoding: [0x00,0x60,0xfd,0xbe]

s_ceil_f32 null, s0
// GFX13: s_ceil_f32 null, s0                     ; encoding: [0x00,0x60,0xfc,0xbe]

s_ceil_f32 s0, s105
// GFX13: s_ceil_f32 s0, s105                     ; encoding: [0x69,0x60,0x80,0xbe]

s_ceil_f32 s0, vcc_lo
// GFX13: s_ceil_f32 s0, vcc_lo                   ; encoding: [0x6a,0x60,0x80,0xbe]

s_ceil_f32 s0, exec_lo
// GFX13: s_ceil_f32 s0, exec_lo                  ; encoding: [0x7e,0x60,0x80,0xbe]

s_ceil_f32 s0, m0
// GFX13: s_ceil_f32 s0, m0                       ; encoding: [0x7d,0x60,0x80,0xbe]

s_ceil_f32 s0, null
// GFX13: s_ceil_f32 s0, null                     ; encoding: [0x7c,0x60,0x80,0xbe]

s_ceil_f32 s0, 0
// GFX13: s_ceil_f32 s0, 0                        ; encoding: [0x80,0x60,0x80,0xbe]

s_ceil_f32 s0, 0.5
// GFX13: s_ceil_f32 s0, 0.5                      ; encoding: [0xf0,0x60,0x80,0xbe]

s_ceil_f32 s0, 0x12345678
// GFX13: s_ceil_f32 s0, 0x12345678               ; encoding: [0xff,0x60,0x80,0xbe,0x78,0x56,0x34,0x12]

s_floor_f32 s105, s0
// GFX13: s_floor_f32 s105, s0                    ; encoding: [0x00,0x61,0xe9,0xbe]

s_floor_f32 vcc_lo, s0
// GFX13: s_floor_f32 vcc_lo, s0                  ; encoding: [0x00,0x61,0xea,0xbe]

s_floor_f32 exec_lo, s0
// GFX13: s_floor_f32 exec_lo, s0                 ; encoding: [0x00,0x61,0xfe,0xbe]

s_floor_f32 m0, s0
// GFX13: s_floor_f32 m0, s0                      ; encoding: [0x00,0x61,0xfd,0xbe]

s_floor_f32 null, s0
// GFX13: s_floor_f32 null, s0                    ; encoding: [0x00,0x61,0xfc,0xbe]

s_floor_f32 s0, s105
// GFX13: s_floor_f32 s0, s105                    ; encoding: [0x69,0x61,0x80,0xbe]

s_floor_f32 s0, vcc_lo
// GFX13: s_floor_f32 s0, vcc_lo                  ; encoding: [0x6a,0x61,0x80,0xbe]

s_floor_f32 s0, exec_lo
// GFX13: s_floor_f32 s0, exec_lo                 ; encoding: [0x7e,0x61,0x80,0xbe]

s_floor_f32 s0, m0
// GFX13: s_floor_f32 s0, m0                      ; encoding: [0x7d,0x61,0x80,0xbe]

s_floor_f32 s0, null
// GFX13: s_floor_f32 s0, null                    ; encoding: [0x7c,0x61,0x80,0xbe]

s_floor_f32 s0, 0
// GFX13: s_floor_f32 s0, 0                       ; encoding: [0x80,0x61,0x80,0xbe]

s_floor_f32 s0, 0.5
// GFX13: s_floor_f32 s0, 0.5                     ; encoding: [0xf0,0x61,0x80,0xbe]

s_floor_f32 s0, 0x12345678
// GFX13: s_floor_f32 s0, 0x12345678              ; encoding: [0xff,0x61,0x80,0xbe,0x78,0x56,0x34,0x12]

s_trunc_f32 s105, s0
// GFX13: s_trunc_f32 s105, s0                    ; encoding: [0x00,0x62,0xe9,0xbe]

s_trunc_f32 vcc_lo, s0
// GFX13: s_trunc_f32 vcc_lo, s0                  ; encoding: [0x00,0x62,0xea,0xbe]

s_trunc_f32 exec_lo, s0
// GFX13: s_trunc_f32 exec_lo, s0                 ; encoding: [0x00,0x62,0xfe,0xbe]

s_trunc_f32 m0, s0
// GFX13: s_trunc_f32 m0, s0                      ; encoding: [0x00,0x62,0xfd,0xbe]

s_trunc_f32 null, s0
// GFX13: s_trunc_f32 null, s0                    ; encoding: [0x00,0x62,0xfc,0xbe]

s_trunc_f32 s0, s105
// GFX13: s_trunc_f32 s0, s105                    ; encoding: [0x69,0x62,0x80,0xbe]

s_trunc_f32 s0, vcc_lo
// GFX13: s_trunc_f32 s0, vcc_lo                  ; encoding: [0x6a,0x62,0x80,0xbe]

s_trunc_f32 s0, exec_lo
// GFX13: s_trunc_f32 s0, exec_lo                 ; encoding: [0x7e,0x62,0x80,0xbe]

s_trunc_f32 s0, m0
// GFX13: s_trunc_f32 s0, m0                      ; encoding: [0x7d,0x62,0x80,0xbe]

s_trunc_f32 s0, null
// GFX13: s_trunc_f32 s0, null                    ; encoding: [0x7c,0x62,0x80,0xbe]

s_trunc_f32 s0, 0
// GFX13: s_trunc_f32 s0, 0                       ; encoding: [0x80,0x62,0x80,0xbe]

s_trunc_f32 s0, 0.5
// GFX13: s_trunc_f32 s0, 0.5                     ; encoding: [0xf0,0x62,0x80,0xbe]

s_trunc_f32 s0, 0x12345678
// GFX13: s_trunc_f32 s0, 0x12345678              ; encoding: [0xff,0x62,0x80,0xbe,0x78,0x56,0x34,0x12]

s_rndne_f32 s105, s0
// GFX13: s_rndne_f32 s105, s0                    ; encoding: [0x00,0x63,0xe9,0xbe]

s_rndne_f32 vcc_lo, s0
// GFX13: s_rndne_f32 vcc_lo, s0                  ; encoding: [0x00,0x63,0xea,0xbe]

s_rndne_f32 exec_lo, s0
// GFX13: s_rndne_f32 exec_lo, s0                 ; encoding: [0x00,0x63,0xfe,0xbe]

s_rndne_f32 m0, s0
// GFX13: s_rndne_f32 m0, s0                      ; encoding: [0x00,0x63,0xfd,0xbe]

s_rndne_f32 null, s0
// GFX13: s_rndne_f32 null, s0                    ; encoding: [0x00,0x63,0xfc,0xbe]

s_rndne_f32 s0, s105
// GFX13: s_rndne_f32 s0, s105                    ; encoding: [0x69,0x63,0x80,0xbe]

s_rndne_f32 s0, vcc_lo
// GFX13: s_rndne_f32 s0, vcc_lo                  ; encoding: [0x6a,0x63,0x80,0xbe]

s_rndne_f32 s0, exec_lo
// GFX13: s_rndne_f32 s0, exec_lo                 ; encoding: [0x7e,0x63,0x80,0xbe]

s_rndne_f32 s0, m0
// GFX13: s_rndne_f32 s0, m0                      ; encoding: [0x7d,0x63,0x80,0xbe]

s_rndne_f32 s0, null
// GFX13: s_rndne_f32 s0, null                    ; encoding: [0x7c,0x63,0x80,0xbe]

s_rndne_f32 s0, 0
// GFX13: s_rndne_f32 s0, 0                       ; encoding: [0x80,0x63,0x80,0xbe]

s_rndne_f32 s0, 0.5
// GFX13: s_rndne_f32 s0, 0.5                     ; encoding: [0xf0,0x63,0x80,0xbe]

s_rndne_f32 s0, 0x12345678
// GFX13: s_rndne_f32 s0, 0x12345678              ; encoding: [0xff,0x63,0x80,0xbe,0x78,0x56,0x34,0x12]

s_cvt_f32_i32 s105, s0
// GFX13: s_cvt_f32_i32 s105, s0                  ; encoding: [0x00,0x64,0xe9,0xbe]

s_cvt_f32_i32 vcc_lo, s0
// GFX13: s_cvt_f32_i32 vcc_lo, s0                ; encoding: [0x00,0x64,0xea,0xbe]

s_cvt_f32_i32 exec_lo, s0
// GFX13: s_cvt_f32_i32 exec_lo, s0               ; encoding: [0x00,0x64,0xfe,0xbe]

s_cvt_f32_i32 m0, s0
// GFX13: s_cvt_f32_i32 m0, s0                    ; encoding: [0x00,0x64,0xfd,0xbe]

s_cvt_f32_i32 null, s0
// GFX13: s_cvt_f32_i32 null, s0                  ; encoding: [0x00,0x64,0xfc,0xbe]

s_cvt_f32_i32 s0, s105
// GFX13: s_cvt_f32_i32 s0, s105                  ; encoding: [0x69,0x64,0x80,0xbe]

s_cvt_f32_i32 s0, vcc_lo
// GFX13: s_cvt_f32_i32 s0, vcc_lo                ; encoding: [0x6a,0x64,0x80,0xbe]

s_cvt_f32_i32 s0, exec_lo
// GFX13: s_cvt_f32_i32 s0, exec_lo               ; encoding: [0x7e,0x64,0x80,0xbe]

s_cvt_f32_i32 s0, m0
// GFX13: s_cvt_f32_i32 s0, m0                    ; encoding: [0x7d,0x64,0x80,0xbe]

s_cvt_f32_i32 s0, null
// GFX13: s_cvt_f32_i32 s0, null                  ; encoding: [0x7c,0x64,0x80,0xbe]

s_cvt_f32_i32 s0, 0
// GFX13: s_cvt_f32_i32 s0, 0                     ; encoding: [0x80,0x64,0x80,0xbe]

s_cvt_f32_i32 s0, 0.5
// GFX13: s_cvt_f32_i32 s0, 0.5                   ; encoding: [0xf0,0x64,0x80,0xbe]

s_cvt_f32_i32 s0, 0x12345678
// GFX13: s_cvt_f32_i32 s0, 0x12345678            ; encoding: [0xff,0x64,0x80,0xbe,0x78,0x56,0x34,0x12]

s_cvt_f32_u32 s105, s0
// GFX13: s_cvt_f32_u32 s105, s0                  ; encoding: [0x00,0x65,0xe9,0xbe]

s_cvt_f32_u32 vcc_lo, s0
// GFX13: s_cvt_f32_u32 vcc_lo, s0                ; encoding: [0x00,0x65,0xea,0xbe]

s_cvt_f32_u32 exec_lo, s0
// GFX13: s_cvt_f32_u32 exec_lo, s0               ; encoding: [0x00,0x65,0xfe,0xbe]

s_cvt_f32_u32 m0, s0
// GFX13: s_cvt_f32_u32 m0, s0                    ; encoding: [0x00,0x65,0xfd,0xbe]

s_cvt_f32_u32 null, s0
// GFX13: s_cvt_f32_u32 null, s0                  ; encoding: [0x00,0x65,0xfc,0xbe]

s_cvt_f32_u32 s0, s105
// GFX13: s_cvt_f32_u32 s0, s105                  ; encoding: [0x69,0x65,0x80,0xbe]

s_cvt_f32_u32 s0, vcc_lo
// GFX13: s_cvt_f32_u32 s0, vcc_lo                ; encoding: [0x6a,0x65,0x80,0xbe]

s_cvt_f32_u32 s0, exec_lo
// GFX13: s_cvt_f32_u32 s0, exec_lo               ; encoding: [0x7e,0x65,0x80,0xbe]

s_cvt_f32_u32 s0, m0
// GFX13: s_cvt_f32_u32 s0, m0                    ; encoding: [0x7d,0x65,0x80,0xbe]

s_cvt_f32_u32 s0, null
// GFX13: s_cvt_f32_u32 s0, null                  ; encoding: [0x7c,0x65,0x80,0xbe]

s_cvt_f32_u32 s0, 0
// GFX13: s_cvt_f32_u32 s0, 0                     ; encoding: [0x80,0x65,0x80,0xbe]

s_cvt_f32_u32 s0, 0.5
// GFX13: s_cvt_f32_u32 s0, 0.5                   ; encoding: [0xf0,0x65,0x80,0xbe]

s_cvt_f32_u32 s0, 0x12345678
// GFX13: s_cvt_f32_u32 s0, 0x12345678            ; encoding: [0xff,0x65,0x80,0xbe,0x78,0x56,0x34,0x12]

s_cvt_i32_f32 s105, s0
// GFX13: s_cvt_i32_f32 s105, s0                  ; encoding: [0x00,0x66,0xe9,0xbe]

s_cvt_i32_f32 vcc_lo, s0
// GFX13: s_cvt_i32_f32 vcc_lo, s0                ; encoding: [0x00,0x66,0xea,0xbe]

s_cvt_i32_f32 exec_lo, s0
// GFX13: s_cvt_i32_f32 exec_lo, s0               ; encoding: [0x00,0x66,0xfe,0xbe]

s_cvt_i32_f32 m0, s0
// GFX13: s_cvt_i32_f32 m0, s0                    ; encoding: [0x00,0x66,0xfd,0xbe]

s_cvt_i32_f32 null, s0
// GFX13: s_cvt_i32_f32 null, s0                  ; encoding: [0x00,0x66,0xfc,0xbe]

s_cvt_i32_f32 s0, s105
// GFX13: s_cvt_i32_f32 s0, s105                  ; encoding: [0x69,0x66,0x80,0xbe]

s_cvt_i32_f32 s0, vcc_lo
// GFX13: s_cvt_i32_f32 s0, vcc_lo                ; encoding: [0x6a,0x66,0x80,0xbe]

s_cvt_i32_f32 s0, exec_lo
// GFX13: s_cvt_i32_f32 s0, exec_lo               ; encoding: [0x7e,0x66,0x80,0xbe]

s_cvt_i32_f32 s0, m0
// GFX13: s_cvt_i32_f32 s0, m0                    ; encoding: [0x7d,0x66,0x80,0xbe]

s_cvt_i32_f32 s0, null
// GFX13: s_cvt_i32_f32 s0, null                  ; encoding: [0x7c,0x66,0x80,0xbe]

s_cvt_i32_f32 s0, 0
// GFX13: s_cvt_i32_f32 s0, 0                     ; encoding: [0x80,0x66,0x80,0xbe]

s_cvt_i32_f32 s0, 0.5
// GFX13: s_cvt_i32_f32 s0, 0.5                   ; encoding: [0xf0,0x66,0x80,0xbe]

s_cvt_i32_f32 s0, 0x12345678
// GFX13: s_cvt_i32_f32 s0, 0x12345678            ; encoding: [0xff,0x66,0x80,0xbe,0x78,0x56,0x34,0x12]

s_cvt_u32_f32 s105, s0
// GFX13: s_cvt_u32_f32 s105, s0                  ; encoding: [0x00,0x67,0xe9,0xbe]

s_cvt_u32_f32 vcc_lo, s0
// GFX13: s_cvt_u32_f32 vcc_lo, s0                ; encoding: [0x00,0x67,0xea,0xbe]

s_cvt_u32_f32 exec_lo, s0
// GFX13: s_cvt_u32_f32 exec_lo, s0               ; encoding: [0x00,0x67,0xfe,0xbe]

s_cvt_u32_f32 m0, s0
// GFX13: s_cvt_u32_f32 m0, s0                    ; encoding: [0x00,0x67,0xfd,0xbe]

s_cvt_u32_f32 null, s0
// GFX13: s_cvt_u32_f32 null, s0                  ; encoding: [0x00,0x67,0xfc,0xbe]

s_cvt_u32_f32 s0, s105
// GFX13: s_cvt_u32_f32 s0, s105                  ; encoding: [0x69,0x67,0x80,0xbe]

s_cvt_u32_f32 s0, vcc_lo
// GFX13: s_cvt_u32_f32 s0, vcc_lo                ; encoding: [0x6a,0x67,0x80,0xbe]

s_cvt_u32_f32 s0, exec_lo
// GFX13: s_cvt_u32_f32 s0, exec_lo               ; encoding: [0x7e,0x67,0x80,0xbe]

s_cvt_u32_f32 s0, m0
// GFX13: s_cvt_u32_f32 s0, m0                    ; encoding: [0x7d,0x67,0x80,0xbe]

s_cvt_u32_f32 s0, null
// GFX13: s_cvt_u32_f32 s0, null                  ; encoding: [0x7c,0x67,0x80,0xbe]

s_cvt_u32_f32 s0, 0
// GFX13: s_cvt_u32_f32 s0, 0                     ; encoding: [0x80,0x67,0x80,0xbe]

s_cvt_u32_f32 s0, 0.5
// GFX13: s_cvt_u32_f32 s0, 0.5                   ; encoding: [0xf0,0x67,0x80,0xbe]

s_cvt_u32_f32 s0, 0x12345678
// GFX13: s_cvt_u32_f32 s0, 0x12345678            ; encoding: [0xff,0x67,0x80,0xbe,0x78,0x56,0x34,0x12]

s_cvt_f16_f32 s105, s0
// GFX13: s_cvt_f16_f32 s105, s0                  ; encoding: [0x00,0x68,0xe9,0xbe]

s_cvt_f16_f32 vcc_lo, s0
// GFX13: s_cvt_f16_f32 vcc_lo, s0                ; encoding: [0x00,0x68,0xea,0xbe]

s_cvt_f16_f32 exec_lo, s0
// GFX13: s_cvt_f16_f32 exec_lo, s0               ; encoding: [0x00,0x68,0xfe,0xbe]

s_cvt_f16_f32 m0, s0
// GFX13: s_cvt_f16_f32 m0, s0                    ; encoding: [0x00,0x68,0xfd,0xbe]

s_cvt_f16_f32 null, s0
// GFX13: s_cvt_f16_f32 null, s0                  ; encoding: [0x00,0x68,0xfc,0xbe]

s_cvt_f16_f32 s0, s105
// GFX13: s_cvt_f16_f32 s0, s105                  ; encoding: [0x69,0x68,0x80,0xbe]

s_cvt_f16_f32 s0, vcc_lo
// GFX13: s_cvt_f16_f32 s0, vcc_lo                ; encoding: [0x6a,0x68,0x80,0xbe]

s_cvt_f16_f32 s0, exec_lo
// GFX13: s_cvt_f16_f32 s0, exec_lo               ; encoding: [0x7e,0x68,0x80,0xbe]

s_cvt_f16_f32 s0, m0
// GFX13: s_cvt_f16_f32 s0, m0                    ; encoding: [0x7d,0x68,0x80,0xbe]

s_cvt_f16_f32 s0, null
// GFX13: s_cvt_f16_f32 s0, null                  ; encoding: [0x7c,0x68,0x80,0xbe]

s_cvt_f16_f32 s0, 0
// GFX13: s_cvt_f16_f32 s0, 0                     ; encoding: [0x80,0x68,0x80,0xbe]

s_cvt_f16_f32 s0, 0.5
// GFX13: s_cvt_f16_f32 s0, 0.5                   ; encoding: [0xf0,0x68,0x80,0xbe]

s_cvt_f16_f32 s0, 0x12345678
// GFX13: s_cvt_f16_f32 s0, 0x12345678            ; encoding: [0xff,0x68,0x80,0xbe,0x78,0x56,0x34,0x12]

s_cvt_f32_f16 s105, s0
// GFX13: s_cvt_f32_f16 s105, s0                  ; encoding: [0x00,0x69,0xe9,0xbe]

s_cvt_f32_f16 vcc_lo, s0
// GFX13: s_cvt_f32_f16 vcc_lo, s0                ; encoding: [0x00,0x69,0xea,0xbe]

s_cvt_f32_f16 exec_lo, s0
// GFX13: s_cvt_f32_f16 exec_lo, s0               ; encoding: [0x00,0x69,0xfe,0xbe]

s_cvt_f32_f16 m0, s0
// GFX13: s_cvt_f32_f16 m0, s0                    ; encoding: [0x00,0x69,0xfd,0xbe]

s_cvt_f32_f16 null, s0
// GFX13: s_cvt_f32_f16 null, s0                  ; encoding: [0x00,0x69,0xfc,0xbe]

s_cvt_f32_f16 s0, s105
// GFX13: s_cvt_f32_f16 s0, s105                  ; encoding: [0x69,0x69,0x80,0xbe]

s_cvt_f32_f16 s0, vcc_lo
// GFX13: s_cvt_f32_f16 s0, vcc_lo                ; encoding: [0x6a,0x69,0x80,0xbe]

s_cvt_f32_f16 s0, exec_lo
// GFX13: s_cvt_f32_f16 s0, exec_lo               ; encoding: [0x7e,0x69,0x80,0xbe]

s_cvt_f32_f16 s0, m0
// GFX13: s_cvt_f32_f16 s0, m0                    ; encoding: [0x7d,0x69,0x80,0xbe]

s_cvt_f32_f16 s0, null
// GFX13: s_cvt_f32_f16 s0, null                  ; encoding: [0x7c,0x69,0x80,0xbe]

s_cvt_f32_f16 s0, 0
// GFX13: s_cvt_f32_f16 s0, 0                     ; encoding: [0x80,0x69,0x80,0xbe]

s_cvt_f32_f16 s0, 0.5
// GFX13: s_cvt_f32_f16 s0, 0.5                   ; encoding: [0xf0,0x69,0x80,0xbe]

s_cvt_f32_f16 s0, 0x1234
// GFX13: s_cvt_f32_f16 s0, 0x1234                ; encoding: [0xff,0x69,0x80,0xbe,0x34,0x12,0x00,0x00]

s_cvt_hi_f32_f16 s105, s0
// GFX13: s_cvt_hi_f32_f16 s105, s0               ; encoding: [0x00,0x6a,0xe9,0xbe]

s_cvt_hi_f32_f16 vcc_lo, s0
// GFX13: s_cvt_hi_f32_f16 vcc_lo, s0             ; encoding: [0x00,0x6a,0xea,0xbe]

s_cvt_hi_f32_f16 exec_lo, s0
// GFX13: s_cvt_hi_f32_f16 exec_lo, s0            ; encoding: [0x00,0x6a,0xfe,0xbe]

s_cvt_hi_f32_f16 m0, s0
// GFX13: s_cvt_hi_f32_f16 m0, s0                 ; encoding: [0x00,0x6a,0xfd,0xbe]

s_cvt_hi_f32_f16 null, s0
// GFX13: s_cvt_hi_f32_f16 null, s0               ; encoding: [0x00,0x6a,0xfc,0xbe]

s_cvt_hi_f32_f16 s0, s105
// GFX13: s_cvt_hi_f32_f16 s0, s105               ; encoding: [0x69,0x6a,0x80,0xbe]

s_cvt_hi_f32_f16 s0, vcc_lo
// GFX13: s_cvt_hi_f32_f16 s0, vcc_lo             ; encoding: [0x6a,0x6a,0x80,0xbe]

s_cvt_hi_f32_f16 s0, exec_lo
// GFX13: s_cvt_hi_f32_f16 s0, exec_lo            ; encoding: [0x7e,0x6a,0x80,0xbe]

s_cvt_hi_f32_f16 s0, m0
// GFX13: s_cvt_hi_f32_f16 s0, m0                 ; encoding: [0x7d,0x6a,0x80,0xbe]

s_cvt_hi_f32_f16 s0, null
// GFX13: s_cvt_hi_f32_f16 s0, null               ; encoding: [0x7c,0x6a,0x80,0xbe]

s_cvt_hi_f32_f16 s0, 0
// GFX13: s_cvt_hi_f32_f16 s0, 0                  ; encoding: [0x80,0x6a,0x80,0xbe]

s_cvt_hi_f32_f16 s0, 0.5
// GFX13: s_cvt_hi_f32_f16 s0, 0.5                ; encoding: [0xf0,0x6a,0x80,0xbe]

s_cvt_hi_f32_f16 s0, 0x1234
// GFX13: s_cvt_hi_f32_f16 s0, 0x1234             ; encoding: [0xff,0x6a,0x80,0xbe,0x34,0x12,0x00,0x00]

s_ceil_f16 s105, s0
// GFX13: s_ceil_f16 s105, s0                     ; encoding: [0x00,0x6b,0xe9,0xbe]

s_ceil_f16 vcc_lo, s0
// GFX13: s_ceil_f16 vcc_lo, s0                   ; encoding: [0x00,0x6b,0xea,0xbe]

s_ceil_f16 exec_lo, s0
// GFX13: s_ceil_f16 exec_lo, s0                  ; encoding: [0x00,0x6b,0xfe,0xbe]

s_ceil_f16 m0, s0
// GFX13: s_ceil_f16 m0, s0                       ; encoding: [0x00,0x6b,0xfd,0xbe]

s_ceil_f16 null, s0
// GFX13: s_ceil_f16 null, s0                     ; encoding: [0x00,0x6b,0xfc,0xbe]

s_ceil_f16 s0, s105
// GFX13: s_ceil_f16 s0, s105                     ; encoding: [0x69,0x6b,0x80,0xbe]

s_ceil_f16 s0, vcc_lo
// GFX13: s_ceil_f16 s0, vcc_lo                   ; encoding: [0x6a,0x6b,0x80,0xbe]

s_ceil_f16 s0, exec_lo
// GFX13: s_ceil_f16 s0, exec_lo                  ; encoding: [0x7e,0x6b,0x80,0xbe]

s_ceil_f16 s0, m0
// GFX13: s_ceil_f16 s0, m0                       ; encoding: [0x7d,0x6b,0x80,0xbe]

s_ceil_f16 s0, null
// GFX13: s_ceil_f16 s0, null                     ; encoding: [0x7c,0x6b,0x80,0xbe]

s_ceil_f16 s0, 0
// GFX13: s_ceil_f16 s0, 0                        ; encoding: [0x80,0x6b,0x80,0xbe]

s_ceil_f16 s0, 0.5
// GFX13: s_ceil_f16 s0, 0.5                      ; encoding: [0xf0,0x6b,0x80,0xbe]

s_ceil_f16 s0, 0x1234
// GFX13: s_ceil_f16 s0, 0x1234                   ; encoding: [0xff,0x6b,0x80,0xbe,0x34,0x12,0x00,0x00]

s_floor_f16 s105, s0
// GFX13: s_floor_f16 s105, s0                    ; encoding: [0x00,0x6c,0xe9,0xbe]

s_floor_f16 vcc_lo, s0
// GFX13: s_floor_f16 vcc_lo, s0                  ; encoding: [0x00,0x6c,0xea,0xbe]

s_floor_f16 exec_lo, s0
// GFX13: s_floor_f16 exec_lo, s0                 ; encoding: [0x00,0x6c,0xfe,0xbe]

s_floor_f16 m0, s0
// GFX13: s_floor_f16 m0, s0                      ; encoding: [0x00,0x6c,0xfd,0xbe]

s_floor_f16 null, s0
// GFX13: s_floor_f16 null, s0                    ; encoding: [0x00,0x6c,0xfc,0xbe]

s_floor_f16 s0, s105
// GFX13: s_floor_f16 s0, s105                    ; encoding: [0x69,0x6c,0x80,0xbe]

s_floor_f16 s0, vcc_lo
// GFX13: s_floor_f16 s0, vcc_lo                  ; encoding: [0x6a,0x6c,0x80,0xbe]

s_floor_f16 s0, exec_lo
// GFX13: s_floor_f16 s0, exec_lo                 ; encoding: [0x7e,0x6c,0x80,0xbe]

s_floor_f16 s0, m0
// GFX13: s_floor_f16 s0, m0                      ; encoding: [0x7d,0x6c,0x80,0xbe]

s_floor_f16 s0, null
// GFX13: s_floor_f16 s0, null                    ; encoding: [0x7c,0x6c,0x80,0xbe]

s_floor_f16 s0, 0
// GFX13: s_floor_f16 s0, 0                       ; encoding: [0x80,0x6c,0x80,0xbe]

s_floor_f16 s0, 0.5
// GFX13: s_floor_f16 s0, 0.5                     ; encoding: [0xf0,0x6c,0x80,0xbe]

s_floor_f16 s0, 0x1234
// GFX13: s_floor_f16 s0, 0x1234                  ; encoding: [0xff,0x6c,0x80,0xbe,0x34,0x12,0x00,0x00]

s_trunc_f16 s105, s0
// GFX13: s_trunc_f16 s105, s0                    ; encoding: [0x00,0x6d,0xe9,0xbe]

s_trunc_f16 vcc_lo, s0
// GFX13: s_trunc_f16 vcc_lo, s0                  ; encoding: [0x00,0x6d,0xea,0xbe]

s_trunc_f16 exec_lo, s0
// GFX13: s_trunc_f16 exec_lo, s0                 ; encoding: [0x00,0x6d,0xfe,0xbe]

s_trunc_f16 m0, s0
// GFX13: s_trunc_f16 m0, s0                      ; encoding: [0x00,0x6d,0xfd,0xbe]

s_trunc_f16 null, s0
// GFX13: s_trunc_f16 null, s0                    ; encoding: [0x00,0x6d,0xfc,0xbe]

s_trunc_f16 s0, s105
// GFX13: s_trunc_f16 s0, s105                    ; encoding: [0x69,0x6d,0x80,0xbe]

s_trunc_f16 s0, vcc_lo
// GFX13: s_trunc_f16 s0, vcc_lo                  ; encoding: [0x6a,0x6d,0x80,0xbe]

s_trunc_f16 s0, exec_lo
// GFX13: s_trunc_f16 s0, exec_lo                 ; encoding: [0x7e,0x6d,0x80,0xbe]

s_trunc_f16 s0, m0
// GFX13: s_trunc_f16 s0, m0                      ; encoding: [0x7d,0x6d,0x80,0xbe]

s_trunc_f16 s0, null
// GFX13: s_trunc_f16 s0, null                    ; encoding: [0x7c,0x6d,0x80,0xbe]

s_trunc_f16 s0, 0
// GFX13: s_trunc_f16 s0, 0                       ; encoding: [0x80,0x6d,0x80,0xbe]

s_trunc_f16 s0, 0.5
// GFX13: s_trunc_f16 s0, 0.5                     ; encoding: [0xf0,0x6d,0x80,0xbe]

s_trunc_f16 s0, 0x1234
// GFX13: s_trunc_f16 s0, 0x1234                  ; encoding: [0xff,0x6d,0x80,0xbe,0x34,0x12,0x00,0x00]

s_rndne_f16 s105, s0
// GFX13: s_rndne_f16 s105, s0                    ; encoding: [0x00,0x6e,0xe9,0xbe]

s_rndne_f16 vcc_lo, s0
// GFX13: s_rndne_f16 vcc_lo, s0                  ; encoding: [0x00,0x6e,0xea,0xbe]

s_rndne_f16 exec_lo, s0
// GFX13: s_rndne_f16 exec_lo, s0                 ; encoding: [0x00,0x6e,0xfe,0xbe]

s_rndne_f16 m0, s0
// GFX13: s_rndne_f16 m0, s0                      ; encoding: [0x00,0x6e,0xfd,0xbe]

s_rndne_f16 null, s0
// GFX13: s_rndne_f16 null, s0                    ; encoding: [0x00,0x6e,0xfc,0xbe]

s_rndne_f16 s0, s105
// GFX13: s_rndne_f16 s0, s105                    ; encoding: [0x69,0x6e,0x80,0xbe]

s_rndne_f16 s0, vcc_lo
// GFX13: s_rndne_f16 s0, vcc_lo                  ; encoding: [0x6a,0x6e,0x80,0xbe]

s_rndne_f16 s0, exec_lo
// GFX13: s_rndne_f16 s0, exec_lo                 ; encoding: [0x7e,0x6e,0x80,0xbe]

s_rndne_f16 s0, m0
// GFX13: s_rndne_f16 s0, m0                      ; encoding: [0x7d,0x6e,0x80,0xbe]

s_rndne_f16 s0, null
// GFX13: s_rndne_f16 s0, null                    ; encoding: [0x7c,0x6e,0x80,0xbe]

s_rndne_f16 s0, 0
// GFX13: s_rndne_f16 s0, 0                       ; encoding: [0x80,0x6e,0x80,0xbe]

s_rndne_f16 s0, 0.5
// GFX13: s_rndne_f16 s0, 0.5                     ; encoding: [0xf0,0x6e,0x80,0xbe]

s_rndne_f16 s0, 0x1234
// GFX13: s_rndne_f16 s0, 0x1234                  ; encoding: [0xff,0x6e,0x80,0xbe,0x34,0x12,0x00,0x00]
